;; amdgpu-corpus repo=ROCm/rocFFT kind=compiled arch=gfx950 opt=O3
	.text
	.amdgcn_target "amdgcn-amd-amdhsa--gfx950"
	.amdhsa_code_object_version 6
	.protected	fft_rtc_back_len169_factors_13_13_wgs_156_tpt_13_dp_ip_CI_sbcc_twdbase6_3step_dirReg_intrinsicRead ; -- Begin function fft_rtc_back_len169_factors_13_13_wgs_156_tpt_13_dp_ip_CI_sbcc_twdbase6_3step_dirReg_intrinsicRead
	.globl	fft_rtc_back_len169_factors_13_13_wgs_156_tpt_13_dp_ip_CI_sbcc_twdbase6_3step_dirReg_intrinsicRead
	.p2align	8
	.type	fft_rtc_back_len169_factors_13_13_wgs_156_tpt_13_dp_ip_CI_sbcc_twdbase6_3step_dirReg_intrinsicRead,@function
fft_rtc_back_len169_factors_13_13_wgs_156_tpt_13_dp_ip_CI_sbcc_twdbase6_3step_dirReg_intrinsicRead: ; @fft_rtc_back_len169_factors_13_13_wgs_156_tpt_13_dp_ip_CI_sbcc_twdbase6_3step_dirReg_intrinsicRead
; %bb.0:
	s_load_dwordx2 s[16:17], s[0:1], 0x58
	s_load_dwordx2 s[30:31], s[0:1], 0x0
	s_load_dwordx8 s[4:11], s[0:1], 0x8
	s_movk_i32 s0, 0xc0
	v_cmp_gt_u32_e32 vcc, s0, v0
	s_and_saveexec_b64 s[0:1], vcc
	s_cbranch_execz .LBB0_3
; %bb.1:
	s_movk_i32 s12, 0xff64
	v_mov_b32_e32 v1, 0
	s_mov_b32 s13, -1
	v_lshlrev_b32_e32 v6, 4, v0
	v_lshl_add_u64 v[2:3], v[0:1], 0, s[12:13]
	v_mov_b32_e32 v7, v1
	v_add_u32_e32 v1, 0, v6
	s_waitcnt lgkmcnt(0)
	v_lshl_add_u64 v[4:5], s[4:5], 0, v[6:7]
	v_add_u32_e32 v1, 0x7ec0, v1
	s_mov_b64 s[4:5], 0
	s_mov_b64 s[12:13], 0x9c
	;; [unrolled: 1-line block ×3, first 2 shown]
.LBB0_2:                                ; =>This Inner Loop Header: Depth=1
	global_load_dwordx4 v[6:9], v[4:5], off
	v_lshl_add_u64 v[2:3], v[2:3], 0, s[12:13]
	v_cmp_lt_u64_e32 vcc, 35, v[2:3]
	v_lshl_add_u64 v[4:5], v[4:5], 0, s[14:15]
	s_or_b64 s[4:5], vcc, s[4:5]
	s_waitcnt vmcnt(0)
	ds_write2_b64 v1, v[6:7], v[8:9] offset1:1
	v_add_u32_e32 v1, 0x9c0, v1
	s_andn2_b64 exec, exec, s[4:5]
	s_cbranch_execnz .LBB0_2
.LBB0_3:
	s_or_b64 exec, exec, s[0:1]
	s_waitcnt lgkmcnt(0)
	s_load_dwordx2 s[4:5], s[8:9], 0x8
	s_mov_b32 s3, 0
	s_mov_b64 s[22:23], 0
	s_waitcnt lgkmcnt(0)
	s_add_u32 s0, s4, -1
	s_addc_u32 s1, s5, -1
	s_add_u32 s12, 0, 0x55540000
	s_addc_u32 s13, 0, 0x55
	s_mul_hi_u32 s15, s12, -12
	s_add_i32 s13, s13, 0x15555500
	s_sub_i32 s15, s15, s12
	s_mul_i32 s20, s13, -12
	s_mul_i32 s14, s12, -12
	s_add_i32 s15, s15, s20
	s_mul_hi_u32 s18, s13, s14
	s_mul_i32 s19, s13, s14
	s_mul_i32 s21, s12, s15
	s_mul_hi_u32 s14, s12, s14
	s_mul_hi_u32 s20, s12, s15
	s_add_u32 s14, s14, s21
	s_addc_u32 s20, 0, s20
	s_add_u32 s14, s14, s19
	s_mul_hi_u32 s21, s13, s15
	s_addc_u32 s14, s20, s18
	s_addc_u32 s18, s21, 0
	s_mul_i32 s15, s13, s15
	s_add_u32 s14, s14, s15
	v_mov_b32_e32 v1, s14
	s_addc_u32 s15, 0, s18
	v_add_co_u32_e32 v1, vcc, s12, v1
	s_cmp_lg_u64 vcc, 0
	s_addc_u32 s12, s13, s15
	v_readfirstlane_b32 s15, v1
	s_mul_i32 s14, s0, s12
	s_mul_hi_u32 s18, s0, s15
	s_mul_hi_u32 s13, s0, s12
	s_add_u32 s14, s18, s14
	s_addc_u32 s13, 0, s13
	s_mul_hi_u32 s19, s1, s15
	s_mul_i32 s15, s1, s15
	s_add_u32 s14, s14, s15
	s_mul_hi_u32 s18, s1, s12
	s_addc_u32 s13, s13, s19
	s_addc_u32 s14, s18, 0
	s_mul_i32 s12, s1, s12
	s_add_u32 s12, s13, s12
	s_addc_u32 s13, 0, s14
	s_add_u32 s14, s12, 1
	s_addc_u32 s15, s13, 0
	s_add_u32 s18, s12, 2
	s_mul_i32 s20, s13, 12
	s_mul_hi_u32 s21, s12, 12
	s_addc_u32 s19, s13, 0
	s_add_i32 s21, s21, s20
	s_mul_i32 s20, s12, 12
	v_mov_b32_e32 v1, s20
	v_sub_co_u32_e32 v1, vcc, s0, v1
	s_cmp_lg_u64 vcc, 0
	s_subb_u32 s0, s1, s21
	v_subrev_co_u32_e32 v2, vcc, 12, v1
	s_cmp_lg_u64 vcc, 0
	s_subb_u32 s1, s0, 0
	v_readfirstlane_b32 s20, v2
	s_cmp_gt_u32 s20, 11
	s_cselect_b32 s20, -1, 0
	s_cmp_eq_u32 s1, 0
	s_cselect_b32 s1, s20, -1
	s_cmp_lg_u32 s1, 0
	s_cselect_b32 s1, s18, s14
	s_cselect_b32 s14, s19, s15
	v_readfirstlane_b32 s15, v1
	s_cmp_gt_u32 s15, 11
	s_cselect_b32 s15, -1, 0
	s_cmp_eq_u32 s0, 0
	s_cselect_b32 s0, s15, -1
	s_cmp_lg_u32 s0, 0
	s_cselect_b32 s1, s1, s12
	s_cselect_b32 s0, s14, s13
	s_add_u32 s18, s1, 1
	s_addc_u32 s19, s0, 0
	v_mov_b64_e32 v[2:3], s[18:19]
	v_cmp_lt_u64_e32 vcc, s[2:3], v[2:3]
	s_cbranch_vccnz .LBB0_5
; %bb.4:
	v_cvt_f32_u32_e32 v1, s18
	s_sub_i32 s0, 0, s18
	s_mov_b32 s23, s3
	v_rcp_iflag_f32_e32 v1, v1
	s_nop 0
	v_mul_f32_e32 v1, 0x4f7ffffe, v1
	v_cvt_u32_f32_e32 v1, v1
	s_nop 0
	v_readfirstlane_b32 s1, v1
	s_mul_i32 s0, s0, s1
	s_mul_hi_u32 s0, s1, s0
	s_add_i32 s1, s1, s0
	s_mul_hi_u32 s0, s2, s1
	s_mul_i32 s12, s0, s18
	s_sub_i32 s12, s2, s12
	s_add_i32 s1, s0, 1
	s_sub_i32 s13, s12, s18
	s_cmp_ge_u32 s12, s18
	s_cselect_b32 s0, s1, s0
	s_cselect_b32 s12, s13, s12
	s_add_i32 s1, s0, 1
	s_cmp_ge_u32 s12, s18
	s_cselect_b32 s22, s1, s0
.LBB0_5:
	s_mul_i32 s0, s22, s19
	s_mul_hi_u32 s1, s22, s18
	s_load_dwordx4 s[12:15], s[10:11], 0x0
	s_add_i32 s1, s1, s0
	s_mul_i32 s0, s22, s18
	s_sub_u32 s0, s2, s0
	s_subb_u32 s1, 0, s1
	s_mul_i32 s1, s1, 12
	s_mul_hi_u32 s20, s0, 12
	s_add_i32 s21, s20, s1
	s_mul_i32 s20, s0, 12
	s_waitcnt lgkmcnt(0)
	s_mul_i32 s0, s14, s21
	s_mul_hi_u32 s1, s14, s20
	s_add_i32 s0, s1, s0
	s_mul_i32 s1, s15, s20
	s_add_i32 s33, s0, s1
	v_cmp_lt_u64_e64 s[0:1], s[6:7], 3
	s_mul_i32 s38, s14, s20
	s_and_b64 vcc, exec, s[0:1]
	s_cbranch_vccnz .LBB0_15
; %bb.6:
	s_add_u32 s24, s10, 16
	s_addc_u32 s25, s11, 0
	s_add_u32 s8, s8, 16
	s_addc_u32 s9, s9, 0
	s_mov_b64 s[26:27], 2
	s_mov_b32 s28, 0
	v_mov_b64_e32 v[2:3], s[6:7]
.LBB0_7:                                ; =>This Inner Loop Header: Depth=1
	s_load_dwordx2 s[34:35], s[8:9], 0x0
	s_waitcnt lgkmcnt(0)
	s_or_b64 s[0:1], s[22:23], s[34:35]
	s_mov_b32 s29, s1
	s_cmp_lg_u64 s[28:29], 0
	s_cbranch_scc0 .LBB0_12
; %bb.8:                                ;   in Loop: Header=BB0_7 Depth=1
	v_cvt_f32_u32_e32 v1, s34
	v_cvt_f32_u32_e32 v4, s35
	s_sub_u32 s0, 0, s34
	s_subb_u32 s1, 0, s35
	v_fmac_f32_e32 v1, 0x4f800000, v4
	v_rcp_f32_e32 v1, v1
	s_nop 0
	v_mul_f32_e32 v1, 0x5f7ffffc, v1
	v_mul_f32_e32 v4, 0x2f800000, v1
	v_trunc_f32_e32 v4, v4
	v_fmac_f32_e32 v1, 0xcf800000, v4
	v_cvt_u32_f32_e32 v4, v4
	v_cvt_u32_f32_e32 v1, v1
	v_readfirstlane_b32 s29, v4
	v_readfirstlane_b32 s36, v1
	s_mul_i32 s37, s0, s29
	s_mul_hi_u32 s40, s0, s36
	s_mul_i32 s39, s1, s36
	s_add_i32 s37, s40, s37
	s_mul_i32 s41, s0, s36
	s_add_i32 s37, s37, s39
	s_mul_hi_u32 s39, s36, s37
	s_mul_i32 s40, s36, s37
	s_mul_hi_u32 s36, s36, s41
	s_add_u32 s36, s36, s40
	s_addc_u32 s39, 0, s39
	s_mul_hi_u32 s42, s29, s41
	s_mul_i32 s41, s29, s41
	s_add_u32 s36, s36, s41
	s_mul_hi_u32 s40, s29, s37
	s_addc_u32 s36, s39, s42
	s_addc_u32 s39, s40, 0
	s_mul_i32 s37, s29, s37
	s_add_u32 s36, s36, s37
	s_addc_u32 s37, 0, s39
	v_add_co_u32_e32 v1, vcc, s36, v1
	s_cmp_lg_u64 vcc, 0
	s_addc_u32 s29, s29, s37
	v_readfirstlane_b32 s37, v1
	s_mul_i32 s36, s0, s29
	s_mul_hi_u32 s39, s0, s37
	s_add_i32 s36, s39, s36
	s_mul_i32 s1, s1, s37
	s_add_i32 s36, s36, s1
	s_mul_i32 s0, s0, s37
	s_mul_hi_u32 s39, s29, s0
	s_mul_i32 s40, s29, s0
	s_mul_i32 s42, s37, s36
	s_mul_hi_u32 s0, s37, s0
	s_mul_hi_u32 s41, s37, s36
	s_add_u32 s0, s0, s42
	s_addc_u32 s37, 0, s41
	s_add_u32 s0, s0, s40
	s_mul_hi_u32 s1, s29, s36
	s_addc_u32 s0, s37, s39
	s_addc_u32 s1, s1, 0
	s_mul_i32 s36, s29, s36
	s_add_u32 s0, s0, s36
	s_addc_u32 s1, 0, s1
	v_add_co_u32_e32 v1, vcc, s0, v1
	s_cmp_lg_u64 vcc, 0
	s_addc_u32 s0, s29, s1
	v_readfirstlane_b32 s36, v1
	s_mul_i32 s29, s22, s0
	s_mul_hi_u32 s37, s22, s36
	s_mul_hi_u32 s1, s22, s0
	s_add_u32 s29, s37, s29
	s_addc_u32 s1, 0, s1
	s_mul_hi_u32 s39, s23, s36
	s_mul_i32 s36, s23, s36
	s_add_u32 s29, s29, s36
	s_mul_hi_u32 s37, s23, s0
	s_addc_u32 s1, s1, s39
	s_addc_u32 s29, s37, 0
	s_mul_i32 s0, s23, s0
	s_add_u32 s36, s1, s0
	s_addc_u32 s29, 0, s29
	s_mul_i32 s0, s34, s29
	s_mul_hi_u32 s1, s34, s36
	s_add_i32 s0, s1, s0
	s_mul_i32 s1, s35, s36
	s_add_i32 s37, s0, s1
	s_mul_i32 s1, s34, s36
	v_mov_b32_e32 v1, s1
	s_sub_i32 s0, s23, s37
	v_sub_co_u32_e32 v1, vcc, s22, v1
	s_cmp_lg_u64 vcc, 0
	s_subb_u32 s39, s0, s35
	v_subrev_co_u32_e64 v4, s[0:1], s34, v1
	s_cmp_lg_u64 s[0:1], 0
	s_subb_u32 s0, s39, 0
	s_cmp_ge_u32 s0, s35
	v_readfirstlane_b32 s39, v4
	s_cselect_b32 s1, -1, 0
	s_cmp_ge_u32 s39, s34
	s_cselect_b32 s39, -1, 0
	s_cmp_eq_u32 s0, s35
	s_cselect_b32 s0, s39, s1
	s_add_u32 s1, s36, 1
	s_addc_u32 s39, s29, 0
	s_add_u32 s40, s36, 2
	s_addc_u32 s41, s29, 0
	s_cmp_lg_u32 s0, 0
	s_cselect_b32 s0, s40, s1
	s_cselect_b32 s1, s41, s39
	s_cmp_lg_u64 vcc, 0
	s_subb_u32 s37, s23, s37
	s_cmp_ge_u32 s37, s35
	v_readfirstlane_b32 s40, v1
	s_cselect_b32 s39, -1, 0
	s_cmp_ge_u32 s40, s34
	s_cselect_b32 s40, -1, 0
	s_cmp_eq_u32 s37, s35
	s_cselect_b32 s37, s40, s39
	s_cmp_lg_u32 s37, 0
	s_cselect_b32 s1, s1, s29
	s_cselect_b32 s0, s0, s36
	s_cbranch_execnz .LBB0_10
.LBB0_9:                                ;   in Loop: Header=BB0_7 Depth=1
	v_cvt_f32_u32_e32 v1, s34
	s_sub_i32 s0, 0, s34
	v_rcp_iflag_f32_e32 v1, v1
	s_nop 0
	v_mul_f32_e32 v1, 0x4f7ffffe, v1
	v_cvt_u32_f32_e32 v1, v1
	s_nop 0
	v_readfirstlane_b32 s1, v1
	s_mul_i32 s0, s0, s1
	s_mul_hi_u32 s0, s1, s0
	s_add_i32 s1, s1, s0
	s_mul_hi_u32 s0, s22, s1
	s_mul_i32 s29, s0, s34
	s_sub_i32 s29, s22, s29
	s_add_i32 s1, s0, 1
	s_sub_i32 s36, s29, s34
	s_cmp_ge_u32 s29, s34
	s_cselect_b32 s0, s1, s0
	s_cselect_b32 s29, s36, s29
	s_add_i32 s1, s0, 1
	s_cmp_ge_u32 s29, s34
	s_cselect_b32 s0, s1, s0
	s_mov_b32 s1, s28
.LBB0_10:                               ;   in Loop: Header=BB0_7 Depth=1
	s_mul_i32 s19, s34, s19
	s_mul_hi_u32 s29, s34, s18
	s_add_i32 s19, s29, s19
	s_mul_i32 s29, s35, s18
	s_add_i32 s19, s19, s29
	s_mul_i32 s29, s0, s35
	s_mul_hi_u32 s35, s0, s34
	s_load_dwordx2 s[36:37], s[24:25], 0x0
	s_add_i32 s29, s35, s29
	s_mul_i32 s35, s1, s34
	s_mul_i32 s18, s34, s18
	s_add_i32 s29, s29, s35
	s_mul_i32 s34, s0, s34
	s_sub_u32 s22, s22, s34
	s_subb_u32 s23, s23, s29
	s_waitcnt lgkmcnt(0)
	s_mul_i32 s23, s36, s23
	s_mul_hi_u32 s29, s36, s22
	s_add_i32 s23, s29, s23
	s_mul_i32 s29, s37, s22
	s_add_i32 s23, s23, s29
	s_mul_i32 s22, s36, s22
	s_add_u32 s38, s22, s38
	s_addc_u32 s33, s23, s33
	s_add_u32 s26, s26, 1
	s_addc_u32 s27, s27, 0
	;; [unrolled: 2-line block ×3, first 2 shown]
	s_add_u32 s8, s8, 8
	v_cmp_ge_u64_e32 vcc, s[26:27], v[2:3]
	s_addc_u32 s9, s9, 0
	s_cbranch_vccnz .LBB0_13
; %bb.11:                               ;   in Loop: Header=BB0_7 Depth=1
	s_mov_b64 s[22:23], s[0:1]
	s_branch .LBB0_7
.LBB0_12:                               ;   in Loop: Header=BB0_7 Depth=1
                                        ; implicit-def: $sgpr0_sgpr1
	s_branch .LBB0_9
.LBB0_13:
	v_mov_b64_e32 v[2:3], s[18:19]
	v_cmp_lt_u64_e32 vcc, s[2:3], v[2:3]
	s_mov_b64 s[22:23], 0
	s_cbranch_vccnz .LBB0_15
; %bb.14:
	v_cvt_f32_u32_e32 v1, s18
	s_sub_i32 s0, 0, s18
	v_rcp_iflag_f32_e32 v1, v1
	s_nop 0
	v_mul_f32_e32 v1, 0x4f7ffffe, v1
	v_cvt_u32_f32_e32 v1, v1
	s_nop 0
	v_readfirstlane_b32 s1, v1
	s_mul_i32 s0, s0, s1
	s_mul_hi_u32 s0, s1, s0
	s_add_i32 s1, s1, s0
	s_mul_hi_u32 s0, s2, s1
	s_mul_i32 s3, s0, s18
	s_sub_i32 s2, s2, s3
	s_add_i32 s1, s0, 1
	s_sub_i32 s3, s2, s18
	s_cmp_ge_u32 s2, s18
	s_cselect_b32 s0, s1, s0
	s_cselect_b32 s2, s3, s2
	s_add_i32 s1, s0, 1
	s_cmp_ge_u32 s2, s18
	s_cselect_b32 s22, s1, s0
.LBB0_15:
	s_lshl_b64 s[0:1], s[6:7], 3
	s_add_u32 s0, s10, s0
	s_addc_u32 s1, s11, s1
	s_load_dwordx2 s[0:1], s[0:1], 0x0
	s_mov_b32 s2, 0x15555556
	v_mul_hi_u32 v82, v0, s2
	v_mul_u32_u24_e32 v1, 12, v82
	v_sub_u32_e32 v62, v0, v1
	s_waitcnt lgkmcnt(0)
	s_mul_i32 s1, s1, s22
	s_mul_hi_u32 s2, s0, s22
	s_mul_i32 s0, s0, s22
	s_add_i32 s1, s2, s1
	s_add_u32 s2, s0, s38
	s_addc_u32 s3, s1, s33
	s_add_u32 s0, s20, 12
	s_addc_u32 s1, s21, 0
	v_mov_b64_e32 v[2:3], s[4:5]
	v_cmp_le_u64_e32 vcc, s[0:1], v[2:3]
	v_mad_u64_u32 v[58:59], s[0:1], s14, v62, 0
	v_mov_b32_e32 v63, 0
	v_mov_b32_e32 v2, v59
	v_lshl_add_u64 v[144:145], s[20:21], 0, v[62:63]
	v_mad_u64_u32 v[2:3], s[0:1], s15, v62, v[2:3]
	v_cmp_gt_u64_e64 s[0:1], s[4:5], v[144:145]
	v_mov_b64_e32 v[44:45], 0
	v_mov_b32_e32 v59, v2
	s_or_b64 s[44:45], vcc, s[0:1]
	v_mov_b64_e32 v[4:5], v[44:45]
	v_mov_b64_e32 v[2:3], v[44:45]
	s_and_saveexec_b64 s[0:1], s[44:45]
	s_cbranch_execz .LBB0_17
; %bb.16:
	v_mul_lo_u32 v1, s12, v82
	v_add3_u32 v2, s2, v58, v1
	v_mov_b32_e32 v3, v63
	v_lshl_add_u64 v[2:3], v[2:3], 4, s[16:17]
	global_load_dwordx4 v[2:5], v[2:3], off
.LBB0_17:
	s_or_b64 exec, exec, s[0:1]
	v_mov_b64_e32 v[42:43], v[44:45]
	s_and_saveexec_b64 s[0:1], s[44:45]
	s_cbranch_execz .LBB0_19
; %bb.18:
	v_add_u32_e32 v1, 13, v82
	v_mul_lo_u32 v1, s12, v1
	v_add3_u32 v6, s2, v58, v1
	v_mov_b32_e32 v7, 0
	v_lshl_add_u64 v[6:7], v[6:7], 4, s[16:17]
	global_load_dwordx4 v[42:45], v[6:7], off
.LBB0_19:
	s_or_b64 exec, exec, s[0:1]
	v_mov_b64_e32 v[28:29], 0
	v_mov_b64_e32 v[36:37], v[28:29]
	v_mov_b64_e32 v[34:35], v[28:29]
	s_and_saveexec_b64 s[0:1], s[44:45]
	s_cbranch_execz .LBB0_21
; %bb.20:
	v_add_u32_e32 v1, 26, v82
	v_mul_lo_u32 v1, s12, v1
	v_add3_u32 v6, s2, v58, v1
	v_mov_b32_e32 v7, 0
	v_lshl_add_u64 v[6:7], v[6:7], 4, s[16:17]
	global_load_dwordx4 v[34:37], v[6:7], off
.LBB0_21:
	s_or_b64 exec, exec, s[0:1]
	v_mov_b64_e32 v[26:27], v[28:29]
	s_and_saveexec_b64 s[0:1], s[44:45]
	s_cbranch_execz .LBB0_23
; %bb.22:
	v_add_u32_e32 v1, 39, v82
	v_mul_lo_u32 v1, s12, v1
	v_add3_u32 v6, s2, v58, v1
	v_mov_b32_e32 v7, 0
	v_lshl_add_u64 v[6:7], v[6:7], 4, s[16:17]
	global_load_dwordx4 v[26:29], v[6:7], off
.LBB0_23:
	s_or_b64 exec, exec, s[0:1]
	v_mov_b64_e32 v[20:21], 0
	v_mov_b64_e32 v[24:25], v[20:21]
	v_mov_b64_e32 v[22:23], v[20:21]
	s_and_saveexec_b64 s[0:1], s[44:45]
	s_cbranch_execz .LBB0_25
; %bb.24:
	v_add_u32_e32 v1, 52, v82
	v_mul_lo_u32 v1, s12, v1
	v_add3_u32 v6, s2, v58, v1
	v_mov_b32_e32 v7, 0
	v_lshl_add_u64 v[6:7], v[6:7], 4, s[16:17]
	global_load_dwordx4 v[22:25], v[6:7], off
.LBB0_25:
	;; [unrolled: 26-line block ×5, first 2 shown]
	s_or_b64 exec, exec, s[0:1]
	v_mov_b64_e32 v[50:51], v[52:53]
	s_and_saveexec_b64 s[0:1], s[44:45]
	s_cbranch_execz .LBB0_39
; %bb.38:
	v_add_u32_e32 v1, 0x8f, v82
	v_mul_lo_u32 v1, s12, v1
	v_add3_u32 v6, s2, v58, v1
	v_mov_b32_e32 v7, 0
	v_lshl_add_u64 v[6:7], v[6:7], 4, s[16:17]
	global_load_dwordx4 v[50:53], v[6:7], off
.LBB0_39:
	s_or_b64 exec, exec, s[0:1]
	v_mov_b64_e32 v[56:57], 0
	v_mov_b64_e32 v[54:55], v[56:57]
	s_and_saveexec_b64 s[0:1], s[44:45]
	s_cbranch_execz .LBB0_41
; %bb.40:
	v_add_u32_e32 v1, 0x9c, v82
	v_mul_lo_u32 v1, s12, v1
	v_add3_u32 v6, s2, v58, v1
	v_mov_b32_e32 v7, 0
	v_lshl_add_u64 v[6:7], v[6:7], 4, s[16:17]
	global_load_dwordx4 v[54:57], v[6:7], off
.LBB0_41:
	s_or_b64 exec, exec, s[0:1]
	s_waitcnt vmcnt(0)
	v_add_f64 v[8:9], v[4:5], v[44:45]
	v_add_f64 v[6:7], v[2:3], v[42:43]
	;; [unrolled: 1-line block ×21, first 2 shown]
	s_mov_b32 s46, 0x4267c47c
	s_mov_b32 s24, 0x42a4c3d2
	;; [unrolled: 1-line block ×6, first 2 shown]
	v_add_f64 v[6:7], v[6:7], v[50:51]
	v_add_f64 v[8:9], v[8:9], v[56:57]
	;; [unrolled: 1-line block ×3, first 2 shown]
	v_add_f64 v[56:57], v[44:45], -v[56:57]
	s_mov_b32 s47, 0xbfddbe06
	s_mov_b32 s0, 0xe00740e9
	;; [unrolled: 1-line block ×12, first 2 shown]
	v_add_f64 v[6:7], v[6:7], v[54:55]
	v_add_f64 v[66:67], v[42:43], v[54:55]
	v_add_f64 v[54:55], v[42:43], -v[54:55]
	v_add_f64 v[42:43], v[36:37], v[52:53]
	v_add_f64 v[36:37], v[36:37], -v[52:53]
	;; [unrolled: 2-line block ×6, first 2 shown]
	s_mov_b32 s1, 0x3fec55a7
	v_mul_f64 v[10:11], v[56:57], s[46:47]
	s_mov_b32 s5, 0x3fe22d96
	v_mul_f64 v[14:15], v[56:57], s[24:25]
	;; [unrolled: 2-line block ×5, first 2 shown]
	v_mul_f64 v[56:57], v[56:57], s[22:23]
	s_mov_b32 s15, 0xbfef11f4
	v_add_f64 v[44:45], v[34:35], v[50:51]
	v_add_f64 v[34:35], v[34:35], -v[50:51]
	v_add_f64 v[50:51], v[28:29], v[48:49]
	v_add_f64 v[28:29], v[28:29], -v[48:49]
	;; [unrolled: 2-line block ×5, first 2 shown]
	v_fma_f64 v[12:13], s[0:1], v[66:67], v[10:11]
	v_fma_f64 v[10:11], v[66:67], s[0:1], -v[10:11]
	v_fma_f64 v[16:17], s[4:5], v[66:67], v[14:15]
	v_fma_f64 v[14:15], v[66:67], s[4:5], -v[14:15]
	;; [unrolled: 2-line block ×6, first 2 shown]
	v_mul_f64 v[66:67], v[54:55], s[46:47]
	v_fma_f64 v[80:81], v[64:65], s[0:1], -v[66:67]
	v_fmac_f64_e32 v[66:67], s[0:1], v[64:65]
	v_mul_f64 v[90:91], v[54:55], s[24:25]
	v_mul_f64 v[94:95], v[54:55], s[36:37]
	;; [unrolled: 1-line block ×5, first 2 shown]
	v_fma_f64 v[92:93], v[64:65], s[4:5], -v[90:91]
	v_fmac_f64_e32 v[90:91], s[4:5], v[64:65]
	v_fma_f64 v[96:97], v[64:65], s[6:7], -v[94:95]
	v_fmac_f64_e32 v[94:95], s[6:7], v[64:65]
	v_fma_f64 v[100:101], v[64:65], s[8:9], -v[98:99]
	v_fmac_f64_e32 v[98:99], s[8:9], v[64:65]
	v_fma_f64 v[104:105], v[64:65], s[10:11], -v[102:103]
	v_fmac_f64_e32 v[102:103], s[10:11], v[64:65]
	v_fma_f64 v[106:107], v[64:65], s[14:15], -v[54:55]
	v_fmac_f64_e32 v[54:55], s[14:15], v[64:65]
	v_add_f64 v[12:13], v[2:3], v[12:13]
	v_add_f64 v[110:111], v[2:3], v[10:11]
	;; [unrolled: 1-line block ×13, first 2 shown]
	v_mul_f64 v[2:3], v[36:37], s[24:25]
	v_add_f64 v[108:109], v[4:5], v[80:81]
	v_add_f64 v[92:93], v[4:5], v[92:93]
	;; [unrolled: 1-line block ×11, first 2 shown]
	v_fma_f64 v[4:5], s[4:5], v[44:45], v[2:3]
	v_mul_f64 v[18:19], v[34:35], s[24:25]
	v_mul_f64 v[20:21], v[28:29], s[36:37]
	v_add_f64 v[4:5], v[4:5], v[12:13]
	v_fma_f64 v[10:11], v[42:43], s[4:5], -v[18:19]
	v_fma_f64 v[12:13], s[6:7], v[52:53], v[20:21]
	v_mul_f64 v[84:85], v[26:27], s[36:37]
	v_add_f64 v[10:11], v[10:11], v[108:109]
	v_add_f64 v[4:5], v[12:13], v[4:5]
	v_fma_f64 v[12:13], v[50:51], s[6:7], -v[84:85]
	v_mul_f64 v[86:87], v[24:25], s[18:19]
	v_add_f64 v[10:11], v[12:13], v[10:11]
	v_fma_f64 v[12:13], s[8:9], v[48:49], v[86:87]
	v_mul_f64 v[88:89], v[22:23], s[18:19]
	v_add_f64 v[4:5], v[12:13], v[4:5]
	v_fma_f64 v[12:13], v[46:47], s[8:9], -v[88:89]
	v_mul_f64 v[102:103], v[32:33], s[20:21]
	v_add_f64 v[10:11], v[12:13], v[10:11]
	v_fma_f64 v[12:13], s[10:11], v[40:41], v[102:103]
	v_mul_f64 v[104:105], v[30:31], s[20:21]
	v_fmac_f64_e32 v[18:19], s[4:5], v[42:43]
	v_add_f64 v[4:5], v[12:13], v[4:5]
	v_fma_f64 v[12:13], v[38:39], s[10:11], -v[104:105]
	v_mul_f64 v[106:107], v[74:75], s[22:23]
	v_add_f64 v[18:19], v[18:19], v[112:113]
	v_fmac_f64_e32 v[84:85], s[6:7], v[50:51]
	v_add_f64 v[12:13], v[12:13], v[10:11]
	v_fma_f64 v[10:11], s[14:15], v[70:71], v[106:107]
	v_fma_f64 v[2:3], v[44:45], s[4:5], -v[2:3]
	v_add_f64 v[18:19], v[84:85], v[18:19]
	v_fmac_f64_e32 v[88:89], s[8:9], v[46:47]
	v_add_f64 v[10:11], v[10:11], v[4:5]
	v_mul_f64 v[4:5], v[72:73], s[22:23]
	v_add_f64 v[2:3], v[2:3], v[110:111]
	v_fma_f64 v[20:21], v[52:53], s[6:7], -v[20:21]
	v_add_f64 v[18:19], v[88:89], v[18:19]
	v_fmac_f64_e32 v[104:105], s[10:11], v[38:39]
	v_fma_f64 v[108:109], v[68:69], s[14:15], -v[4:5]
	v_add_f64 v[2:3], v[20:21], v[2:3]
	v_fma_f64 v[20:21], v[48:49], s[8:9], -v[86:87]
	v_add_f64 v[18:19], v[104:105], v[18:19]
	v_fmac_f64_e32 v[4:5], s[14:15], v[68:69]
	v_mul_f64 v[84:85], v[36:37], s[18:19]
	v_add_f64 v[2:3], v[20:21], v[2:3]
	v_fma_f64 v[20:21], v[40:41], s[10:11], -v[102:103]
	v_add_f64 v[4:5], v[4:5], v[18:19]
	v_fma_f64 v[18:19], s[8:9], v[44:45], v[84:85]
	v_mul_f64 v[86:87], v[34:35], s[18:19]
	v_add_f64 v[2:3], v[20:21], v[2:3]
	v_fma_f64 v[20:21], v[70:71], s[14:15], -v[106:107]
	v_add_f64 v[16:17], v[18:19], v[16:17]
	v_fma_f64 v[18:19], v[42:43], s[8:9], -v[86:87]
	v_mul_f64 v[88:89], v[28:29], s[22:23]
	v_add_f64 v[2:3], v[20:21], v[2:3]
	v_add_f64 v[18:19], v[18:19], v[92:93]
	v_fma_f64 v[20:21], s[14:15], v[52:53], v[88:89]
	v_mul_f64 v[92:93], v[26:27], s[22:23]
	s_mov_b32 s41, 0x3fe5384d
	s_mov_b32 s40, s20
	v_add_f64 v[16:17], v[20:21], v[16:17]
	v_fma_f64 v[20:21], v[50:51], s[14:15], -v[92:93]
	v_mul_f64 v[102:103], v[24:25], s[40:41]
	v_add_f64 v[18:19], v[20:21], v[18:19]
	v_fma_f64 v[20:21], s[10:11], v[48:49], v[102:103]
	v_mul_f64 v[104:105], v[22:23], s[40:41]
	s_mov_b32 s27, 0x3fefc445
	s_mov_b32 s26, s36
	v_add_f64 v[16:17], v[20:21], v[16:17]
	v_fma_f64 v[20:21], v[46:47], s[10:11], -v[104:105]
	v_mul_f64 v[106:107], v[32:33], s[26:27]
	v_add_f64 v[12:13], v[108:109], v[12:13]
	v_add_f64 v[18:19], v[20:21], v[18:19]
	v_fma_f64 v[20:21], s[6:7], v[40:41], v[106:107]
	v_mul_f64 v[108:109], v[30:31], s[26:27]
	s_mov_b32 s29, 0x3fddbe06
	s_mov_b32 s28, s46
	v_fma_f64 v[84:85], v[44:45], s[8:9], -v[84:85]
	v_fmac_f64_e32 v[86:87], s[8:9], v[42:43]
	v_add_f64 v[16:17], v[20:21], v[16:17]
	v_fma_f64 v[20:21], v[38:39], s[6:7], -v[108:109]
	v_mul_f64 v[110:111], v[74:75], s[28:29]
	v_add_f64 v[14:15], v[84:85], v[14:15]
	v_add_f64 v[84:85], v[86:87], v[90:91]
	v_fma_f64 v[86:87], v[52:53], s[14:15], -v[88:89]
	v_fmac_f64_e32 v[92:93], s[14:15], v[50:51]
	v_add_f64 v[20:21], v[20:21], v[18:19]
	v_fma_f64 v[18:19], s[0:1], v[70:71], v[110:111]
	v_add_f64 v[14:15], v[86:87], v[14:15]
	v_add_f64 v[84:85], v[92:93], v[84:85]
	v_fma_f64 v[86:87], v[48:49], s[10:11], -v[102:103]
	v_fmac_f64_e32 v[104:105], s[10:11], v[46:47]
	v_add_f64 v[18:19], v[18:19], v[16:17]
	v_mul_f64 v[16:17], v[72:73], s[28:29]
	v_add_f64 v[14:15], v[86:87], v[14:15]
	v_add_f64 v[84:85], v[104:105], v[84:85]
	v_fma_f64 v[86:87], v[40:41], s[6:7], -v[106:107]
	v_fmac_f64_e32 v[108:109], s[6:7], v[38:39]
	v_fma_f64 v[112:113], v[68:69], s[0:1], -v[16:17]
	v_add_f64 v[14:15], v[86:87], v[14:15]
	v_add_f64 v[84:85], v[108:109], v[84:85]
	v_fma_f64 v[86:87], v[70:71], s[0:1], -v[110:111]
	v_fmac_f64_e32 v[16:17], s[0:1], v[68:69]
	v_mul_f64 v[88:89], v[36:37], s[22:23]
	v_mul_f64 v[90:91], v[34:35], s[22:23]
	s_mov_b32 s43, 0x3fedeba7
	s_mov_b32 s42, s18
	v_add_f64 v[14:15], v[86:87], v[14:15]
	v_add_f64 v[16:17], v[16:17], v[84:85]
	v_fma_f64 v[84:85], s[14:15], v[44:45], v[88:89]
	v_fma_f64 v[86:87], v[42:43], s[14:15], -v[90:91]
	v_mul_f64 v[92:93], v[28:29], s[42:43]
	v_add_f64 v[84:85], v[84:85], v[114:115]
	v_add_f64 v[86:87], v[86:87], v[96:97]
	v_fma_f64 v[96:97], s[8:9], v[52:53], v[92:93]
	v_add_f64 v[84:85], v[96:97], v[84:85]
	v_mul_f64 v[96:97], v[26:27], s[42:43]
	v_fma_f64 v[102:103], v[50:51], s[8:9], -v[96:97]
	v_add_f64 v[86:87], v[102:103], v[86:87]
	v_mul_f64 v[102:103], v[24:25], s[28:29]
	v_fma_f64 v[104:105], s[0:1], v[48:49], v[102:103]
	v_add_f64 v[84:85], v[104:105], v[84:85]
	v_mul_f64 v[104:105], v[22:23], s[28:29]
	v_fma_f64 v[106:107], v[46:47], s[0:1], -v[104:105]
	v_add_f64 v[86:87], v[106:107], v[86:87]
	v_mul_f64 v[106:107], v[32:33], s[24:25]
	v_fma_f64 v[108:109], s[4:5], v[40:41], v[106:107]
	v_fma_f64 v[88:89], v[44:45], s[14:15], -v[88:89]
	v_add_f64 v[84:85], v[108:109], v[84:85]
	v_mul_f64 v[108:109], v[30:31], s[24:25]
	v_add_f64 v[88:89], v[88:89], v[116:117]
	v_fma_f64 v[92:93], v[52:53], s[8:9], -v[92:93]
	v_fma_f64 v[110:111], v[38:39], s[4:5], -v[108:109]
	v_fmac_f64_e32 v[90:91], s[14:15], v[42:43]
	v_add_f64 v[88:89], v[92:93], v[88:89]
	v_fma_f64 v[92:93], v[48:49], s[0:1], -v[102:103]
	v_add_f64 v[86:87], v[110:111], v[86:87]
	v_mul_f64 v[110:111], v[74:75], s[20:21]
	v_add_f64 v[90:91], v[90:91], v[94:95]
	v_fmac_f64_e32 v[96:97], s[8:9], v[50:51]
	v_add_f64 v[88:89], v[92:93], v[88:89]
	v_fma_f64 v[92:93], v[40:41], s[4:5], -v[106:107]
	v_mul_f64 v[102:103], v[34:35], s[40:41]
	v_add_f64 v[90:91], v[96:97], v[90:91]
	v_add_f64 v[88:89], v[92:93], v[88:89]
	v_fma_f64 v[92:93], v[70:71], s[10:11], -v[110:111]
	v_mul_f64 v[96:97], v[36:37], s[40:41]
	v_fma_f64 v[94:95], v[42:43], s[10:11], -v[102:103]
	v_fmac_f64_e32 v[104:105], s[0:1], v[46:47]
	v_add_f64 v[88:89], v[92:93], v[88:89]
	v_fma_f64 v[92:93], s[10:11], v[44:45], v[96:97]
	v_add_f64 v[94:95], v[94:95], v[100:101]
	v_mul_f64 v[100:101], v[28:29], s[28:29]
	v_add_f64 v[90:91], v[104:105], v[90:91]
	v_add_f64 v[92:93], v[92:93], v[118:119]
	v_fma_f64 v[104:105], s[0:1], v[52:53], v[100:101]
	v_add_f64 v[92:93], v[104:105], v[92:93]
	v_mul_f64 v[104:105], v[26:27], s[28:29]
	v_fma_f64 v[106:107], v[50:51], s[0:1], -v[104:105]
	v_fmac_f64_e32 v[108:109], s[4:5], v[38:39]
	v_add_f64 v[94:95], v[106:107], v[94:95]
	v_mul_f64 v[106:107], v[24:25], s[36:37]
	v_add_f64 v[90:91], v[108:109], v[90:91]
	v_fma_f64 v[108:109], s[6:7], v[48:49], v[106:107]
	v_add_f64 v[20:21], v[112:113], v[20:21]
	v_fma_f64 v[112:113], s[10:11], v[70:71], v[110:111]
	v_add_f64 v[92:93], v[108:109], v[92:93]
	v_mul_f64 v[108:109], v[22:23], s[36:37]
	v_add_f64 v[84:85], v[112:113], v[84:85]
	v_mul_f64 v[112:113], v[72:73], s[20:21]
	v_fma_f64 v[110:111], v[46:47], s[6:7], -v[108:109]
	s_mov_b32 s39, 0x3fcea1e5
	s_mov_b32 s38, s22
	v_fma_f64 v[114:115], v[68:69], s[10:11], -v[112:113]
	v_fmac_f64_e32 v[112:113], s[10:11], v[68:69]
	v_add_f64 v[94:95], v[110:111], v[94:95]
	v_mul_f64 v[110:111], v[32:33], s[38:39]
	v_add_f64 v[90:91], v[112:113], v[90:91]
	v_fma_f64 v[112:113], s[14:15], v[40:41], v[110:111]
	v_fma_f64 v[96:97], v[44:45], s[10:11], -v[96:97]
	v_add_f64 v[92:93], v[112:113], v[92:93]
	v_mul_f64 v[112:113], v[30:31], s[38:39]
	v_add_f64 v[96:97], v[96:97], v[120:121]
	v_fma_f64 v[100:101], v[52:53], s[0:1], -v[100:101]
	v_add_f64 v[86:87], v[114:115], v[86:87]
	v_fma_f64 v[114:115], v[38:39], s[14:15], -v[112:113]
	s_mov_b32 s35, 0x3fea55e2
	s_mov_b32 s34, s24
	v_fmac_f64_e32 v[102:103], s[10:11], v[42:43]
	v_add_f64 v[96:97], v[100:101], v[96:97]
	v_fma_f64 v[100:101], v[48:49], s[6:7], -v[106:107]
	v_add_f64 v[94:95], v[114:115], v[94:95]
	v_mul_f64 v[114:115], v[74:75], s[34:35]
	v_add_f64 v[98:99], v[102:103], v[98:99]
	v_fmac_f64_e32 v[104:105], s[0:1], v[50:51]
	v_add_f64 v[96:97], v[100:101], v[96:97]
	v_fma_f64 v[100:101], v[40:41], s[14:15], -v[110:111]
	v_add_f64 v[98:99], v[104:105], v[98:99]
	v_fmac_f64_e32 v[108:109], s[6:7], v[46:47]
	v_add_f64 v[96:97], v[100:101], v[96:97]
	v_fma_f64 v[100:101], v[70:71], s[4:5], -v[114:115]
	v_mul_f64 v[104:105], v[36:37], s[26:27]
	v_mul_f64 v[106:107], v[34:35], s[26:27]
	v_add_f64 v[98:99], v[108:109], v[98:99]
	v_add_f64 v[96:97], v[100:101], v[96:97]
	v_fma_f64 v[100:101], s[6:7], v[44:45], v[104:105]
	v_fma_f64 v[102:103], v[42:43], s[6:7], -v[106:107]
	v_mul_f64 v[108:109], v[28:29], s[24:25]
	v_fma_f64 v[116:117], s[4:5], v[70:71], v[114:115]
	v_fmac_f64_e32 v[112:113], s[14:15], v[38:39]
	v_add_f64 v[100:101], v[100:101], v[122:123]
	v_add_f64 v[80:81], v[102:103], v[80:81]
	v_fma_f64 v[102:103], s[4:5], v[52:53], v[108:109]
	v_mul_f64 v[110:111], v[26:27], s[24:25]
	v_add_f64 v[92:93], v[116:117], v[92:93]
	v_mul_f64 v[116:117], v[72:73], s[34:35]
	v_add_f64 v[98:99], v[112:113], v[98:99]
	v_add_f64 v[100:101], v[102:103], v[100:101]
	v_fma_f64 v[102:103], v[50:51], s[4:5], -v[110:111]
	v_mul_f64 v[112:113], v[24:25], s[38:39]
	v_fma_f64 v[118:119], v[68:69], s[4:5], -v[116:117]
	v_fmac_f64_e32 v[116:117], s[4:5], v[68:69]
	v_add_f64 v[80:81], v[102:103], v[80:81]
	v_fma_f64 v[102:103], s[14:15], v[48:49], v[112:113]
	v_mul_f64 v[114:115], v[22:23], s[38:39]
	v_add_f64 v[98:99], v[116:117], v[98:99]
	v_add_f64 v[100:101], v[102:103], v[100:101]
	v_fma_f64 v[102:103], v[46:47], s[14:15], -v[114:115]
	v_mul_f64 v[116:117], v[32:33], s[28:29]
	v_add_f64 v[94:95], v[118:119], v[94:95]
	v_add_f64 v[80:81], v[102:103], v[80:81]
	v_fma_f64 v[102:103], s[0:1], v[40:41], v[116:117]
	v_mul_f64 v[118:119], v[30:31], s[28:29]
	v_add_f64 v[100:101], v[102:103], v[100:101]
	v_fma_f64 v[102:103], v[38:39], s[0:1], -v[118:119]
	v_mul_f64 v[120:121], v[74:75], s[18:19]
	v_add_f64 v[80:81], v[102:103], v[80:81]
	v_fma_f64 v[102:103], s[8:9], v[70:71], v[120:121]
	v_mul_f64 v[122:123], v[72:73], s[18:19]
	v_add_f64 v[100:101], v[102:103], v[100:101]
	v_fma_f64 v[102:103], v[68:69], s[8:9], -v[122:123]
	v_add_f64 v[102:103], v[102:103], v[80:81]
	v_fma_f64 v[80:81], v[44:45], s[6:7], -v[104:105]
	v_fmac_f64_e32 v[106:107], s[6:7], v[42:43]
	v_add_f64 v[78:79], v[80:81], v[78:79]
	v_add_f64 v[76:77], v[106:107], v[76:77]
	v_fma_f64 v[80:81], v[52:53], s[4:5], -v[108:109]
	v_fmac_f64_e32 v[110:111], s[4:5], v[50:51]
	v_add_f64 v[78:79], v[80:81], v[78:79]
	;; [unrolled: 4-line block ×4, first 2 shown]
	v_add_f64 v[80:81], v[118:119], v[76:77]
	v_fma_f64 v[76:77], v[70:71], s[8:9], -v[120:121]
	v_fmac_f64_e32 v[122:123], s[8:9], v[68:69]
	v_mul_f64 v[36:37], v[36:37], s[28:29]
	v_add_f64 v[76:77], v[76:77], v[78:79]
	v_add_f64 v[78:79], v[122:123], v[80:81]
	v_fma_f64 v[80:81], s[0:1], v[44:45], v[36:37]
	v_mul_f64 v[34:35], v[34:35], s[28:29]
	v_add_f64 v[66:67], v[80:81], v[66:67]
	v_fma_f64 v[80:81], v[42:43], s[0:1], -v[34:35]
	v_mul_f64 v[28:29], v[28:29], s[20:21]
	v_add_f64 v[64:65], v[80:81], v[64:65]
	v_fma_f64 v[80:81], s[10:11], v[52:53], v[28:29]
	v_add_f64 v[66:67], v[80:81], v[66:67]
	v_mul_f64 v[80:81], v[26:27], s[20:21]
	v_fma_f64 v[26:27], v[50:51], s[10:11], -v[80:81]
	v_add_f64 v[26:27], v[26:27], v[64:65]
	v_mul_f64 v[64:65], v[24:25], s[34:35]
	v_fma_f64 v[24:25], s[4:5], v[48:49], v[64:65]
	v_mul_f64 v[22:23], v[22:23], s[34:35]
	v_add_f64 v[24:25], v[24:25], v[66:67]
	v_fma_f64 v[66:67], v[46:47], s[4:5], -v[22:23]
	v_mul_f64 v[32:33], v[32:33], s[18:19]
	v_add_f64 v[26:27], v[66:67], v[26:27]
	v_fma_f64 v[66:67], s[8:9], v[40:41], v[32:33]
	v_mul_f64 v[30:31], v[30:31], s[18:19]
	v_fma_f64 v[36:37], v[44:45], s[0:1], -v[36:37]
	v_fmac_f64_e32 v[34:35], s[0:1], v[42:43]
	v_add_f64 v[24:25], v[66:67], v[24:25]
	v_fma_f64 v[66:67], v[38:39], s[8:9], -v[30:31]
	v_add_f64 v[36:37], v[36:37], v[56:57]
	v_add_f64 v[34:35], v[34:35], v[54:55]
	v_fma_f64 v[28:29], v[52:53], s[10:11], -v[28:29]
	v_fmac_f64_e32 v[80:81], s[10:11], v[50:51]
	v_add_f64 v[26:27], v[66:67], v[26:27]
	v_mul_f64 v[66:67], v[74:75], s[26:27]
	v_add_f64 v[28:29], v[28:29], v[36:37]
	v_add_f64 v[34:35], v[80:81], v[34:35]
	v_fma_f64 v[36:37], v[48:49], s[4:5], -v[64:65]
	v_fmac_f64_e32 v[22:23], s[4:5], v[46:47]
	v_fma_f64 v[74:75], s[6:7], v[70:71], v[66:67]
	v_mul_f64 v[72:73], v[72:73], s[26:27]
	v_add_f64 v[28:29], v[36:37], v[28:29]
	v_add_f64 v[22:23], v[22:23], v[34:35]
	v_fma_f64 v[32:33], v[40:41], s[8:9], -v[32:33]
	v_fmac_f64_e32 v[30:31], s[8:9], v[38:39]
	v_add_f64 v[24:25], v[74:75], v[24:25]
	v_fma_f64 v[74:75], v[68:69], s[6:7], -v[72:73]
	v_add_f64 v[28:29], v[32:33], v[28:29]
	v_add_f64 v[22:23], v[30:31], v[22:23]
	v_fma_f64 v[30:31], v[70:71], s[6:7], -v[66:67]
	v_fmac_f64_e32 v[72:73], s[6:7], v[68:69]
	s_movk_i32 s33, 0x9c0
	v_add_f64 v[28:29], v[30:31], v[28:29]
	v_add_f64 v[30:31], v[72:73], v[22:23]
	v_mad_u32_u24 v22, v82, s33, 0
	v_lshl_add_u32 v1, v62, 4, v22
	v_add_f64 v[26:27], v[74:75], v[26:27]
	ds_write_b128 v1, v[6:9]
	ds_write_b128 v1, v[10:13] offset:192
	ds_write_b128 v1, v[18:21] offset:384
	;; [unrolled: 1-line block ×12, first 2 shown]
	s_waitcnt lgkmcnt(0)
	s_barrier
	s_and_saveexec_b64 s[48:49], s[44:45]
	s_cbranch_execz .LBB0_43
; %bb.42:
	s_mov_b32 s33, 0x13b13b14
	v_mul_hi_u32 v1, v82, s33
	v_mul_u32_u24_e32 v1, 13, v1
	v_sub_u32_e32 v1, v82, v1
	v_mul_u32_u24_e32 v2, 12, v1
	v_lshlrev_b32_e32 v23, 4, v2
	global_load_dwordx4 v[6:9], v23, s[30:31] offset:80
	global_load_dwordx4 v[2:5], v23, s[30:31] offset:96
	;; [unrolled: 1-line block ×10, first 2 shown]
	global_load_dwordx4 v[44:47], v23, s[30:31]
	global_load_dwordx4 v[106:109], v23, s[30:31] offset:176
	v_mul_i32_i24_e32 v23, 0xfffff700, v82
	v_lshlrev_b32_e32 v48, 4, v62
	v_add3_u32 v60, v22, v23, v48
	ds_read_b128 v[48:51], v60 offset:14976
	ds_read_b128 v[78:81], v60 offset:17472
	;; [unrolled: 1-line block ×11, first 2 shown]
	s_add_i32 s30, 0, 0x7ec0
	v_mul_lo_u32 v145, v144, -13
	s_waitcnt vmcnt(11) lgkmcnt(10)
	v_mul_f64 v[54:55], v[50:51], v[8:9]
	v_mul_f64 v[8:9], v[48:49], v[8:9]
	s_waitcnt vmcnt(10) lgkmcnt(9)
	v_mul_f64 v[56:57], v[80:81], v[4:5]
	v_fmac_f64_e32 v[54:55], v[48:49], v[6:7]
	v_fma_f64 v[82:83], v[50:51], v[6:7], -v[8:9]
	ds_read_b128 v[6:9], v60 offset:29952
	s_waitcnt vmcnt(5) lgkmcnt(5)
	v_mul_f64 v[74:75], v[104:105], v[30:31]
	s_waitcnt vmcnt(4) lgkmcnt(4)
	v_mul_f64 v[68:69], v[112:113], v[34:35]
	v_mul_f64 v[64:65], v[88:89], v[16:17]
	;; [unrolled: 1-line block ×8, first 2 shown]
	s_waitcnt vmcnt(3) lgkmcnt(3)
	v_mul_f64 v[76:77], v[116:117], v[38:39]
	s_waitcnt vmcnt(2) lgkmcnt(2)
	v_mul_f64 v[72:73], v[120:121], v[42:43]
	v_fmac_f64_e32 v[56:57], v[78:79], v[2:3]
	v_fmac_f64_e32 v[74:75], v[102:103], v[28:29]
	;; [unrolled: 1-line block ×3, first 2 shown]
	v_mul_f64 v[4:5], v[78:79], v[4:5]
	v_mul_f64 v[16:17], v[86:87], v[16:17]
	;; [unrolled: 1-line block ×3, first 2 shown]
	v_fmac_f64_e32 v[64:65], v[86:87], v[14:15]
	v_fma_f64 v[86:87], v[92:93], v[10:11], -v[12:13]
	v_fmac_f64_e32 v[66:67], v[98:99], v[24:25]
	v_fma_f64 v[98:99], v[104:105], v[28:29], -v[26:27]
	v_fma_f64 v[92:93], v[112:113], v[32:33], -v[30:31]
	v_fmac_f64_e32 v[76:77], v[114:115], v[36:37]
	v_fmac_f64_e32 v[72:73], v[118:119], v[40:41]
	v_add_f64 v[26:27], v[54:55], -v[56:57]
	v_add_f64 v[32:33], v[74:75], -v[68:69]
	v_mul_f64 v[70:71], v[96:97], v[20:21]
	v_mul_f64 v[20:21], v[94:95], v[20:21]
	;; [unrolled: 1-line block ×3, first 2 shown]
	v_fma_f64 v[84:85], v[80:81], v[2:3], -v[4:5]
	v_fmac_f64_e32 v[62:63], v[90:91], v[10:11]
	v_fma_f64 v[90:91], v[100:101], v[24:25], -v[22:23]
	v_fma_f64 v[100:101], v[116:117], v[36:37], -v[34:35]
	v_add_f64 v[34:35], v[76:77], -v[72:73]
	v_mul_f64 v[2:3], v[26:27], s[22:23]
	v_mul_f64 v[4:5], v[32:33], s[36:37]
	v_fmac_f64_e32 v[70:71], v[94:95], v[18:19]
	v_fma_f64 v[94:95], v[96:97], v[18:19], -v[20:21]
	v_fma_f64 v[96:97], v[120:121], v[40:41], -v[38:39]
	v_add_f64 v[50:51], v[82:83], v[84:85]
	v_add_f64 v[132:133], v[98:99], v[92:93]
	v_mul_f64 v[20:21], v[34:35], s[24:25]
	v_accvgpr_write_b32 a0, v2
	v_accvgpr_write_b32 a2, v4
	v_fma_f64 v[88:89], v[88:89], v[14:15], -v[16:17]
	v_add_f64 v[134:135], v[100:101], v[96:97]
	v_fma_f64 v[10:11], s[14:15], v[50:51], v[2:3]
	v_accvgpr_write_b32 a1, v3
	v_fma_f64 v[16:17], s[6:7], v[132:133], v[4:5]
	v_accvgpr_write_b32 a3, v5
	ds_read_b128 v[2:5], v60
	v_accvgpr_write_b32 a4, v20
	s_waitcnt vmcnt(1) lgkmcnt(2)
	v_mul_f64 v[80:81], v[124:125], v[46:47]
	s_waitcnt vmcnt(0) lgkmcnt(1)
	v_mul_f64 v[78:79], v[8:9], v[108:109]
	v_fma_f64 v[18:19], s[4:5], v[134:135], v[20:21]
	v_accvgpr_write_b32 a5, v21
	v_fmac_f64_e32 v[80:81], v[122:123], v[44:45]
	v_fmac_f64_e32 v[78:79], v[6:7], v[106:107]
	v_mul_f64 v[20:21], v[122:123], v[46:47]
	v_mul_f64 v[6:7], v[6:7], v[108:109]
	v_add_f64 v[36:37], v[80:81], -v[78:79]
	v_fma_f64 v[104:105], v[124:125], v[44:45], -v[20:21]
	v_fma_f64 v[102:103], v[8:9], v[106:107], -v[6:7]
	v_mul_f64 v[146:147], v[36:37], s[46:47]
	v_add_f64 v[148:149], v[104:105], v[102:103]
	v_fma_f64 v[6:7], s[0:1], v[148:149], v[146:147]
	v_add_f64 v[30:31], v[70:71], -v[66:67]
	s_waitcnt lgkmcnt(0)
	v_add_f64 v[6:7], v[4:5], v[6:7]
	v_add_f64 v[28:29], v[64:65], -v[62:63]
	v_add_f64 v[130:131], v[94:95], v[90:91]
	v_mul_f64 v[140:141], v[30:31], s[18:19]
	v_add_f64 v[6:7], v[18:19], v[6:7]
	v_add_f64 v[52:53], v[88:89], v[86:87]
	v_mul_f64 v[138:139], v[28:29], s[20:21]
	v_fma_f64 v[14:15], s[8:9], v[130:131], v[140:141]
	v_add_f64 v[6:7], v[16:17], v[6:7]
	v_add_u32_e32 v8, 0x9c, v1
	v_fma_f64 v[12:13], s[10:11], v[52:53], v[138:139]
	v_add_f64 v[6:7], v[14:15], v[6:7]
	v_mul_lo_u32 v42, v8, v144
	v_add_f64 v[6:7], v[12:13], v[6:7]
	v_lshrrev_b32_e32 v12, 2, v42
	v_and_b32_e32 v8, 63, v42
	v_and_b32_e32 v12, 0x3f0, v12
	v_lshl_add_u32 v8, v8, 4, 0
	v_add_u32_e32 v12, s30, v12
	v_add_f64 v[6:7], v[10:11], v[6:7]
	ds_read_b128 v[8:11], v8 offset:32448
	ds_read_b128 v[12:15], v12 offset:1024
	v_lshrrev_b32_e32 v16, 8, v42
	v_and_b32_e32 v16, 0x3f0, v16
	v_add_f64 v[208:209], v[104:105], -v[102:103]
	v_add_u32_e32 v16, s30, v16
	v_add_f64 v[206:207], v[100:101], -v[96:97]
	v_add_f64 v[126:127], v[80:81], v[78:79]
	v_mul_f64 v[128:129], v[208:209], s[46:47]
	ds_read_b128 v[16:19], v16 offset:2048
	v_add_f64 v[204:205], v[98:99], -v[92:93]
	v_add_f64 v[124:125], v[76:77], v[72:73]
	v_mul_f64 v[122:123], v[206:207], s[24:25]
	v_fma_f64 v[40:41], v[126:127], s[0:1], -v[128:129]
	v_add_f64 v[202:203], v[94:95], -v[90:91]
	v_add_f64 v[120:121], v[74:75], v[68:69]
	v_mul_f64 v[114:115], v[204:205], s[36:37]
	v_fma_f64 v[38:39], v[124:125], s[4:5], -v[122:123]
	v_add_f64 v[40:41], v[2:3], v[40:41]
	s_waitcnt lgkmcnt(1)
	v_mul_f64 v[20:21], v[10:11], v[14:15]
	v_add_f64 v[200:201], v[88:89], -v[86:87]
	v_add_f64 v[118:119], v[70:71], v[66:67]
	v_mul_f64 v[110:111], v[202:203], s[18:19]
	v_fma_f64 v[24:25], v[120:121], s[6:7], -v[114:115]
	v_add_f64 v[38:39], v[38:39], v[40:41]
	v_fma_f64 v[20:21], v[8:9], v[12:13], -v[20:21]
	v_mul_f64 v[8:9], v[8:9], v[14:15]
	v_add_f64 v[198:199], v[82:83], -v[84:85]
	v_add_f64 v[116:117], v[64:65], v[62:63]
	v_mul_f64 v[108:109], v[200:201], s[20:21]
	v_fma_f64 v[22:23], v[118:119], s[8:9], -v[110:111]
	v_add_f64 v[24:25], v[24:25], v[38:39]
	v_fmac_f64_e32 v[8:9], v[10:11], v[12:13]
	v_add_f64 v[112:113], v[54:55], v[56:57]
	v_mul_f64 v[106:107], v[198:199], s[22:23]
	v_fma_f64 v[14:15], v[116:117], s[10:11], -v[108:109]
	v_add_f64 v[22:23], v[22:23], v[24:25]
	s_waitcnt lgkmcnt(0)
	v_mul_f64 v[10:11], v[8:9], v[18:19]
	v_fma_f64 v[12:13], v[112:113], s[14:15], -v[106:107]
	v_add_f64 v[14:15], v[14:15], v[22:23]
	v_mul_f64 v[156:157], v[36:37], s[24:25]
	v_fma_f64 v[10:11], v[16:17], v[20:21], -v[10:11]
	v_add_f64 v[12:13], v[12:13], v[14:15]
	v_mul_f64 v[14:15], v[20:21], v[18:19]
	v_mul_f64 v[154:155], v[34:35], s[18:19]
	v_fma_f64 v[20:21], s[4:5], v[148:149], v[156:157]
	v_fmac_f64_e32 v[14:15], v[16:17], v[8:9]
	v_mul_f64 v[152:153], v[32:33], s[22:23]
	v_fma_f64 v[18:19], s[8:9], v[134:135], v[154:155]
	v_add_f64 v[20:21], v[4:5], v[20:21]
	v_mul_f64 v[8:9], v[12:13], v[14:15]
	v_mul_f64 v[150:151], v[30:31], s[40:41]
	v_fma_f64 v[16:17], s[14:15], v[132:133], v[152:153]
	v_add_f64 v[18:19], v[18:19], v[20:21]
	v_fma_f64 v[8:9], v[6:7], v[10:11], -v[8:9]
	v_mul_f64 v[6:7], v[6:7], v[14:15]
	v_mul_f64 v[48:49], v[28:29], s[26:27]
	v_fma_f64 v[14:15], s[10:11], v[130:131], v[150:151]
	v_add_f64 v[16:17], v[16:17], v[18:19]
	v_fmac_f64_e32 v[6:7], v[12:13], v[10:11]
	v_mul_f64 v[46:47], v[26:27], s[28:29]
	v_fma_f64 v[12:13], s[6:7], v[52:53], v[48:49]
	v_add_f64 v[14:15], v[14:15], v[16:17]
	v_add_u32_e32 v60, v42, v145
	v_fma_f64 v[10:11], s[0:1], v[50:51], v[46:47]
	v_add_f64 v[12:13], v[12:13], v[14:15]
	v_lshrrev_b32_e32 v16, 2, v60
	v_add_f64 v[10:11], v[10:11], v[12:13]
	v_and_b32_e32 v12, 63, v60
	v_and_b32_e32 v16, 0x3f0, v16
	v_lshl_add_u32 v12, v12, 4, 0
	v_add_u32_e32 v16, s30, v16
	ds_read_b128 v[12:15], v12 offset:32448
	ds_read_b128 v[16:19], v16 offset:1024
	v_lshrrev_b32_e32 v20, 8, v60
	v_and_b32_e32 v20, 0x3f0, v20
	v_add_u32_e32 v20, s30, v20
	v_mul_f64 v[168:169], v[208:209], s[24:25]
	ds_read_b128 v[20:23], v20 offset:2048
	v_mul_f64 v[166:167], v[206:207], s[18:19]
	v_fma_f64 v[44:45], v[126:127], s[4:5], -v[168:169]
	v_mul_f64 v[164:165], v[204:205], s[22:23]
	v_fma_f64 v[42:43], v[124:125], s[8:9], -v[166:167]
	v_add_f64 v[44:45], v[2:3], v[44:45]
	s_waitcnt lgkmcnt(1)
	v_mul_f64 v[24:25], v[14:15], v[18:19]
	v_mul_f64 v[162:163], v[202:203], s[40:41]
	v_fma_f64 v[40:41], v[120:121], s[14:15], -v[164:165]
	v_add_f64 v[42:43], v[42:43], v[44:45]
	v_fma_f64 v[24:25], v[12:13], v[16:17], -v[24:25]
	v_mul_f64 v[12:13], v[12:13], v[18:19]
	v_mul_f64 v[160:161], v[200:201], s[26:27]
	v_fma_f64 v[38:39], v[118:119], s[10:11], -v[162:163]
	v_add_f64 v[40:41], v[40:41], v[42:43]
	v_fmac_f64_e32 v[12:13], v[14:15], v[16:17]
	v_mul_f64 v[158:159], v[198:199], s[28:29]
	v_fma_f64 v[18:19], v[116:117], s[6:7], -v[160:161]
	v_add_f64 v[38:39], v[38:39], v[40:41]
	s_waitcnt lgkmcnt(0)
	v_mul_f64 v[14:15], v[12:13], v[22:23]
	v_fma_f64 v[16:17], v[112:113], s[0:1], -v[158:159]
	v_add_f64 v[18:19], v[18:19], v[38:39]
	v_mul_f64 v[188:189], v[36:37], s[36:37]
	v_fma_f64 v[14:15], v[20:21], v[24:25], -v[14:15]
	v_add_f64 v[16:17], v[16:17], v[18:19]
	v_mul_f64 v[18:19], v[24:25], v[22:23]
	v_mul_f64 v[186:187], v[34:35], s[22:23]
	v_fma_f64 v[24:25], s[6:7], v[148:149], v[188:189]
	v_fmac_f64_e32 v[18:19], v[20:21], v[12:13]
	v_mul_f64 v[184:185], v[32:33], s[42:43]
	v_fma_f64 v[22:23], s[14:15], v[134:135], v[186:187]
	v_add_f64 v[24:25], v[4:5], v[24:25]
	v_mul_f64 v[12:13], v[16:17], v[18:19]
	v_mul_f64 v[182:183], v[30:31], s[28:29]
	v_fma_f64 v[20:21], s[8:9], v[132:133], v[184:185]
	v_add_f64 v[22:23], v[22:23], v[24:25]
	v_fma_f64 v[12:13], v[10:11], v[14:15], -v[12:13]
	v_mul_f64 v[10:11], v[10:11], v[18:19]
	v_mul_f64 v[180:181], v[28:29], s[24:25]
	v_fma_f64 v[18:19], s[0:1], v[130:131], v[182:183]
	v_add_f64 v[20:21], v[20:21], v[22:23]
	v_fmac_f64_e32 v[10:11], v[16:17], v[14:15]
	v_mul_f64 v[178:179], v[26:27], s[20:21]
	v_fma_f64 v[16:17], s[4:5], v[52:53], v[180:181]
	v_add_f64 v[18:19], v[18:19], v[20:21]
	v_add_u32_e32 v60, v60, v145
	v_fma_f64 v[14:15], s[10:11], v[50:51], v[178:179]
	v_add_f64 v[16:17], v[16:17], v[18:19]
	v_lshrrev_b32_e32 v18, 2, v60
	v_add_f64 v[38:39], v[14:15], v[16:17]
	v_and_b32_e32 v14, 63, v60
	v_and_b32_e32 v18, 0x3f0, v18
	v_lshl_add_u32 v14, v14, 4, 0
	v_add_u32_e32 v18, s30, v18
	ds_read_b128 v[14:17], v14 offset:32448
	ds_read_b128 v[18:21], v18 offset:1024
	v_lshrrev_b32_e32 v22, 8, v60
	v_and_b32_e32 v22, 0x3f0, v22
	v_add_u32_e32 v22, s30, v22
	ds_read_b128 v[22:25], v22 offset:2048
	v_mul_f64 v[176:177], v[208:209], s[36:37]
	v_mul_f64 v[174:175], v[206:207], s[22:23]
	v_fma_f64 v[196:197], v[126:127], s[6:7], -v[176:177]
	s_waitcnt lgkmcnt(1)
	v_mul_f64 v[40:41], v[16:17], v[20:21]
	v_mul_f64 v[172:173], v[204:205], s[42:43]
	v_fma_f64 v[194:195], v[124:125], s[14:15], -v[174:175]
	v_add_f64 v[196:197], v[2:3], v[196:197]
	v_fma_f64 v[40:41], v[14:15], v[18:19], -v[40:41]
	v_mul_f64 v[14:15], v[14:15], v[20:21]
	v_mul_f64 v[170:171], v[202:203], s[28:29]
	v_fma_f64 v[192:193], v[120:121], s[8:9], -v[172:173]
	v_add_f64 v[194:195], v[194:195], v[196:197]
	v_fmac_f64_e32 v[14:15], v[16:17], v[18:19]
	v_mul_f64 v[44:45], v[200:201], s[24:25]
	v_fma_f64 v[190:191], v[118:119], s[0:1], -v[170:171]
	v_add_f64 v[192:193], v[192:193], v[194:195]
	s_waitcnt lgkmcnt(0)
	v_mul_f64 v[16:17], v[14:15], v[24:25]
	v_mul_f64 v[42:43], v[198:199], s[20:21]
	v_fma_f64 v[20:21], v[116:117], s[4:5], -v[44:45]
	v_add_f64 v[190:191], v[190:191], v[192:193]
	v_fma_f64 v[18:19], v[22:23], v[40:41], -v[16:17]
	v_fma_f64 v[16:17], v[112:113], s[10:11], -v[42:43]
	v_add_f64 v[20:21], v[20:21], v[190:191]
	v_mul_f64 v[24:25], v[40:41], v[24:25]
	v_mul_f64 v[196:197], v[36:37], s[18:19]
	v_add_f64 v[20:21], v[16:17], v[20:21]
	v_fmac_f64_e32 v[24:25], v[22:23], v[14:15]
	v_mul_f64 v[194:195], v[34:35], s[40:41]
	v_fma_f64 v[212:213], s[8:9], v[148:149], v[196:197]
	v_mul_f64 v[14:15], v[20:21], v[24:25]
	v_mul_f64 v[192:193], v[32:33], s[28:29]
	v_fma_f64 v[210:211], s[10:11], v[134:135], v[194:195]
	v_add_f64 v[212:213], v[4:5], v[212:213]
	v_fma_f64 v[16:17], v[38:39], v[18:19], -v[14:15]
	v_mul_f64 v[14:15], v[38:39], v[24:25]
	v_mul_f64 v[190:191], v[30:31], s[36:37]
	v_fma_f64 v[24:25], s[0:1], v[132:133], v[192:193]
	v_add_f64 v[210:211], v[210:211], v[212:213]
	v_mul_f64 v[40:41], v[28:29], s[38:39]
	v_fma_f64 v[22:23], s[6:7], v[130:131], v[190:191]
	v_add_f64 v[24:25], v[24:25], v[210:211]
	v_fmac_f64_e32 v[14:15], v[20:21], v[18:19]
	v_mul_f64 v[38:39], v[26:27], s[34:35]
	v_fma_f64 v[20:21], s[14:15], v[52:53], v[40:41]
	v_add_f64 v[22:23], v[22:23], v[24:25]
	v_fma_f64 v[18:19], s[4:5], v[50:51], v[38:39]
	v_add_f64 v[20:21], v[20:21], v[22:23]
	v_add_u32_e32 v60, v60, v145
	v_add_f64 v[22:23], v[18:19], v[20:21]
	v_and_b32_e32 v18, 63, v60
	v_lshl_add_u32 v18, v18, 4, 0
	ds_read_b128 v[210:213], v18 offset:32448
	v_lshrrev_b32_e32 v18, 2, v60
	v_and_b32_e32 v18, 0x3f0, v18
	v_add_u32_e32 v18, s30, v18
	ds_read_b128 v[214:217], v18 offset:1024
	v_lshrrev_b32_e32 v18, 8, v60
	v_add_u32_e32 v60, v60, v145
	v_and_b32_e32 v61, 63, v60
	v_lshl_add_u32 v61, v61, 4, 0
	s_waitcnt lgkmcnt(0)
	v_mul_f64 v[24:25], v[212:213], v[216:217]
	v_mul_f64 v[222:223], v[210:211], v[216:217]
	v_fma_f64 v[24:25], v[210:211], v[214:215], -v[24:25]
	v_fmac_f64_e32 v[222:223], v[212:213], v[214:215]
	ds_read_b128 v[214:217], v61 offset:32448
	v_lshrrev_b32_e32 v61, 2, v60
	v_and_b32_e32 v18, 0x3f0, v18
	v_and_b32_e32 v61, 0x3f0, v61
	v_add_u32_e32 v18, s30, v18
	v_add_u32_e32 v61, s30, v61
	ds_read_b128 v[18:21], v18 offset:2048
	ds_read_b128 v[218:221], v61 offset:1024
	v_add_u32_e32 v61, v60, v145
	v_and_b32_e32 v136, 63, v61
	v_lshl_add_u32 v136, v136, 4, 0
	ds_read_b128 v[224:227], v136 offset:32448
	v_lshrrev_b32_e32 v136, 2, v61
	v_and_b32_e32 v136, 0x3f0, v136
	v_add_u32_e32 v136, s30, v136
	v_add_u32_e32 v240, v61, v145
	ds_read_b128 v[228:231], v136 offset:1024
	v_and_b32_e32 v136, 63, v240
	s_waitcnt lgkmcnt(2)
	v_mul_f64 v[232:233], v[216:217], v[220:221]
	v_mul_f64 v[246:247], v[214:215], v[220:221]
	v_lshl_add_u32 v136, v136, 4, 0
	v_fma_f64 v[232:233], v[214:215], v[218:219], -v[232:233]
	v_fmac_f64_e32 v[246:247], v[216:217], v[218:219]
	ds_read_b128 v[218:221], v136 offset:32448
	v_lshrrev_b32_e32 v136, 2, v240
	v_and_b32_e32 v136, 0x3f0, v136
	v_add_u32_e32 v136, s30, v136
	ds_read_b128 v[242:245], v136 offset:1024
	s_waitcnt lgkmcnt(2)
	v_mul_f64 v[214:215], v[226:227], v[230:231]
	v_fma_f64 v[248:249], v[224:225], v[228:229], -v[214:215]
	v_mul_f64 v[230:231], v[224:225], v[230:231]
	v_fmac_f64_e32 v[230:231], v[226:227], v[228:229]
	s_waitcnt lgkmcnt(0)
	v_mul_f64 v[236:237], v[218:219], v[244:245]
	v_mul_f64 v[224:225], v[220:221], v[244:245]
	v_fmac_f64_e32 v[236:237], v[220:221], v[242:243]
	v_mul_f64 v[220:221], v[208:209], s[18:19]
	v_fma_f64 v[234:235], v[218:219], v[242:243], -v[224:225]
	v_mul_f64 v[218:219], v[206:207], s[40:41]
	v_fma_f64 v[226:227], v[126:127], s[8:9], -v[220:221]
	;; [unrolled: 2-line block ×3, first 2 shown]
	v_add_f64 v[226:227], v[2:3], v[226:227]
	v_mul_f64 v[214:215], v[202:203], s[36:37]
	v_add_f64 v[224:225], v[224:225], v[226:227]
	v_fma_f64 v[226:227], v[120:121], s[0:1], -v[216:217]
	v_mul_f64 v[212:213], v[200:201], s[38:39]
	v_add_f64 v[224:225], v[226:227], v[224:225]
	v_fma_f64 v[226:227], v[118:119], s[6:7], -v[214:215]
	;; [unrolled: 3-line block ×3, first 2 shown]
	v_add_f64 v[224:225], v[226:227], v[224:225]
	v_fma_f64 v[226:227], v[112:113], s[4:5], -v[210:211]
	v_add_f64 v[224:225], v[226:227], v[224:225]
	v_mul_f64 v[226:227], v[222:223], v[20:21]
	v_fma_f64 v[226:227], v[18:19], v[24:25], -v[226:227]
	v_mul_f64 v[24:25], v[24:25], v[20:21]
	v_fmac_f64_e32 v[24:25], v[18:19], v[222:223]
	v_mul_f64 v[18:19], v[224:225], v[24:25]
	v_fma_f64 v[20:21], v[22:23], v[226:227], -v[18:19]
	v_mul_f64 v[18:19], v[22:23], v[24:25]
	v_lshrrev_b32_e32 v22, 8, v60
	v_and_b32_e32 v22, 0x3f0, v22
	v_add_u32_e32 v22, s30, v22
	ds_read_b128 v[22:25], v22 offset:2048
	v_lshrrev_b32_e32 v60, 8, v61
	v_and_b32_e32 v60, 0x3f0, v60
	v_add_u32_e32 v60, s30, v60
	v_fmac_f64_e32 v[18:19], v[224:225], v[226:227]
	s_waitcnt lgkmcnt(0)
	v_mul_f64 v[222:223], v[246:247], v[24:25]
	v_fma_f64 v[242:243], v[22:23], v[232:233], -v[222:223]
	ds_read_b128 v[222:225], v60 offset:2048
	v_mul_f64 v[244:245], v[232:233], v[24:25]
	v_mul_f64 v[254:255], v[36:37], s[20:21]
	v_fmac_f64_e32 v[244:245], v[22:23], v[246:247]
	v_mul_f64 v[250:251], v[34:35], s[26:27]
	s_waitcnt lgkmcnt(0)
	v_mul_f64 v[22:23], v[230:231], v[224:225]
	v_fma_f64 v[24:25], s[10:11], v[148:149], v[254:255]
	v_mul_f64 v[246:247], v[32:33], s[24:25]
	v_fma_f64 v[252:253], v[222:223], v[248:249], -v[22:23]
	v_fma_f64 v[22:23], s[6:7], v[134:135], v[250:251]
	v_add_f64 v[24:25], v[4:5], v[24:25]
	v_mul_f64 v[238:239], v[30:31], s[38:39]
	v_add_f64 v[22:23], v[22:23], v[24:25]
	v_fma_f64 v[24:25], s[4:5], v[132:133], v[246:247]
	v_add_f64 v[22:23], v[24:25], v[22:23]
	v_fma_f64 v[24:25], s[14:15], v[130:131], v[238:239]
	v_mul_f64 v[60:61], v[28:29], s[28:29]
	v_mul_f64 v[248:249], v[248:249], v[224:225]
	v_add_f64 v[22:23], v[24:25], v[22:23]
	v_fma_f64 v[24:25], s[0:1], v[52:53], v[60:61]
	v_mul_f64 v[142:143], v[26:27], s[18:19]
	v_fmac_f64_e32 v[248:249], v[222:223], v[230:231]
	v_add_f64 v[22:23], v[24:25], v[22:23]
	v_fma_f64 v[24:25], s[8:9], v[50:51], v[142:143]
	v_mul_f64 v[222:223], v[208:209], s[20:21]
	v_add_f64 v[22:23], v[24:25], v[22:23]
	v_fma_f64 v[24:25], v[126:127], s[10:11], -v[222:223]
	v_mul_f64 v[224:225], v[206:207], s[26:27]
	v_add_f64 v[24:25], v[2:3], v[24:25]
	v_fma_f64 v[226:227], v[124:125], s[6:7], -v[224:225]
	v_add_f64 v[24:25], v[226:227], v[24:25]
	v_mul_f64 v[226:227], v[204:205], s[24:25]
	v_fma_f64 v[228:229], v[120:121], s[4:5], -v[226:227]
	v_add_f64 v[24:25], v[228:229], v[24:25]
	v_mul_f64 v[228:229], v[202:203], s[38:39]
	;; [unrolled: 3-line block ×5, first 2 shown]
	v_fma_f64 v[24:25], v[22:23], v[242:243], -v[24:25]
	v_mul_f64 v[22:23], v[22:23], v[244:245]
	v_mul_f64 v[36:37], v[36:37], s[22:23]
	v_fmac_f64_e32 v[22:23], v[136:137], v[242:243]
	v_mul_f64 v[34:35], v[34:35], s[28:29]
	v_fma_f64 v[136:137], s[14:15], v[148:149], v[36:37]
	v_add_f64 v[136:137], v[4:5], v[136:137]
	v_fma_f64 v[242:243], s[0:1], v[134:135], v[34:35]
	v_mul_f64 v[32:33], v[32:33], s[20:21]
	v_add_f64 v[136:137], v[242:243], v[136:137]
	v_fma_f64 v[242:243], s[10:11], v[132:133], v[32:33]
	v_mul_f64 v[30:31], v[30:31], s[34:35]
	v_add_f64 v[136:137], v[242:243], v[136:137]
	v_fma_f64 v[242:243], s[4:5], v[130:131], v[30:31]
	v_fma_f64 v[36:37], v[148:149], s[14:15], -v[36:37]
	v_add_f64 v[136:137], v[242:243], v[136:137]
	v_mul_f64 v[242:243], v[28:29], s[18:19]
	v_fma_f64 v[34:35], v[134:135], s[0:1], -v[34:35]
	v_add_f64 v[36:37], v[4:5], v[36:37]
	v_fma_f64 v[28:29], s[8:9], v[52:53], v[242:243]
	v_add_f64 v[34:35], v[34:35], v[36:37]
	v_fma_f64 v[32:33], v[132:133], s[10:11], -v[32:33]
	v_add_f64 v[28:29], v[28:29], v[136:137]
	v_mul_f64 v[136:137], v[26:27], s[26:27]
	v_add_f64 v[32:33], v[32:33], v[34:35]
	v_fma_f64 v[30:31], v[130:131], s[4:5], -v[30:31]
	v_fma_f64 v[26:27], s[6:7], v[50:51], v[136:137]
	v_mul_f64 v[208:209], v[208:209], s[22:23]
	v_add_f64 v[30:31], v[30:31], v[32:33]
	v_fma_f64 v[32:33], v[52:53], s[8:9], -v[242:243]
	v_add_f64 v[26:27], v[26:27], v[28:29]
	v_mul_f64 v[206:207], v[206:207], s[28:29]
	v_fma_f64 v[28:29], v[126:127], s[14:15], -v[208:209]
	v_add_f64 v[30:31], v[32:33], v[30:31]
	v_fma_f64 v[32:33], v[50:51], s[6:7], -v[136:137]
	v_fmac_f64_e32 v[208:209], s[14:15], v[126:127]
	v_add_f64 v[28:29], v[2:3], v[28:29]
	v_fma_f64 v[244:245], v[124:125], s[0:1], -v[206:207]
	v_mul_f64 v[204:205], v[204:205], s[20:21]
	v_add_f64 v[34:35], v[32:33], v[30:31]
	v_fmac_f64_e32 v[206:207], s[0:1], v[124:125]
	v_add_f64 v[30:31], v[2:3], v[208:209]
	v_lshrrev_b32_e32 v32, 8, v240
	v_add_f64 v[28:29], v[244:245], v[28:29]
	v_fma_f64 v[244:245], v[120:121], s[10:11], -v[204:205]
	v_mul_f64 v[202:203], v[202:203], s[34:35]
	v_add_f64 v[30:31], v[206:207], v[30:31]
	v_fmac_f64_e32 v[204:205], s[10:11], v[120:121]
	v_and_b32_e32 v32, 0x3f0, v32
	v_add_f64 v[28:29], v[244:245], v[28:29]
	v_fma_f64 v[244:245], v[118:119], s[4:5], -v[202:203]
	v_add_f64 v[30:31], v[204:205], v[30:31]
	v_add_u32_e32 v32, s30, v32
	v_fmac_f64_e32 v[202:203], s[4:5], v[118:119]
	v_add_f64 v[36:37], v[202:203], v[30:31]
	ds_read_b128 v[30:33], v32 offset:2048
	v_mul_f64 v[200:201], v[200:201], s[18:19]
	v_add_f64 v[28:29], v[244:245], v[28:29]
	v_fma_f64 v[244:245], v[116:117], s[8:9], -v[200:201]
	v_mul_f64 v[198:199], v[198:199], s[26:27]
	v_fmac_f64_e32 v[200:201], s[8:9], v[116:117]
	v_add_f64 v[28:29], v[244:245], v[28:29]
	v_fma_f64 v[244:245], v[112:113], s[6:7], -v[198:199]
	v_add_f64 v[36:37], v[200:201], v[36:37]
	v_fmac_f64_e32 v[198:199], s[6:7], v[112:113]
	v_add_f64 v[36:37], v[198:199], v[36:37]
	s_waitcnt lgkmcnt(0)
	v_mul_f64 v[198:199], v[234:235], v[32:33]
	v_mul_f64 v[136:137], v[236:237], v[32:33]
	v_fmac_f64_e32 v[198:199], v[30:31], v[236:237]
	v_fma_f64 v[136:137], v[30:31], v[234:235], -v[136:137]
	v_mul_f64 v[30:31], v[36:37], v[198:199]
	v_fma_f64 v[32:33], v[34:35], v[136:137], -v[30:31]
	v_mul_f64 v[30:31], v[34:35], v[198:199]
	v_fma_f64 v[198:199], v[148:149], s[10:11], -v[254:255]
	v_fma_f64 v[34:35], v[50:51], s[8:9], -v[142:143]
	;; [unrolled: 1-line block ×3, first 2 shown]
	v_add_f64 v[198:199], v[4:5], v[198:199]
	v_fmac_f64_e32 v[30:31], v[36:37], v[136:137]
	v_fma_f64 v[136:137], v[132:133], s[4:5], -v[246:247]
	v_add_f64 v[142:143], v[142:143], v[198:199]
	v_fma_f64 v[36:37], v[52:53], s[0:1], -v[60:61]
	v_fma_f64 v[60:61], v[130:131], s[14:15], -v[238:239]
	v_add_f64 v[136:137], v[136:137], v[142:143]
	v_add_f64 v[60:61], v[60:61], v[136:137]
	;; [unrolled: 1-line block ×3, first 2 shown]
	v_add_u32_e32 v234, v240, v145
	v_add_f64 v[34:35], v[34:35], v[36:37]
	v_and_b32_e32 v36, 63, v234
	v_lshl_add_u32 v36, v36, 4, 0
	ds_read_b128 v[198:201], v36 offset:32448
	v_lshrrev_b32_e32 v36, 2, v234
	v_and_b32_e32 v36, 0x3f0, v36
	v_add_u32_e32 v36, s30, v36
	ds_read_b128 v[202:205], v36 offset:1024
	v_lshrrev_b32_e32 v36, 8, v234
	v_and_b32_e32 v36, 0x3f0, v36
	v_add_u32_e32 v36, s30, v36
	ds_read_b128 v[206:209], v36 offset:2048
	v_fmac_f64_e32 v[222:223], s[10:11], v[126:127]
	v_fmac_f64_e32 v[224:225], s[6:7], v[124:125]
	v_add_f64 v[142:143], v[2:3], v[222:223]
	v_fmac_f64_e32 v[226:227], s[4:5], v[120:121]
	v_add_f64 v[142:143], v[224:225], v[142:143]
	s_waitcnt lgkmcnt(1)
	v_mul_f64 v[36:37], v[200:201], v[204:205]
	v_fmac_f64_e32 v[228:229], s[14:15], v[118:119]
	v_add_f64 v[142:143], v[226:227], v[142:143]
	v_fma_f64 v[36:37], v[198:199], v[202:203], -v[36:37]
	v_mul_f64 v[60:61], v[198:199], v[204:205]
	v_fmac_f64_e32 v[230:231], s[0:1], v[116:117]
	v_add_f64 v[142:143], v[228:229], v[142:143]
	v_fmac_f64_e32 v[60:61], v[200:201], v[202:203]
	v_fmac_f64_e32 v[232:233], s[8:9], v[112:113]
	v_add_f64 v[142:143], v[230:231], v[142:143]
	s_waitcnt lgkmcnt(0)
	v_mul_f64 v[198:199], v[36:37], v[208:209]
	v_mul_f64 v[136:137], v[60:61], v[208:209]
	v_add_f64 v[142:143], v[232:233], v[142:143]
	v_fmac_f64_e32 v[198:199], v[206:207], v[60:61]
	v_fma_f64 v[136:137], v[206:207], v[36:37], -v[136:137]
	v_mul_f64 v[36:37], v[142:143], v[198:199]
	v_fma_f64 v[36:37], v[34:35], v[136:137], -v[36:37]
	v_mul_f64 v[34:35], v[34:35], v[198:199]
	v_fma_f64 v[60:61], v[130:131], s[6:7], -v[190:191]
	v_fma_f64 v[190:191], v[148:149], s[8:9], -v[196:197]
	v_fmac_f64_e32 v[34:35], v[142:143], v[136:137]
	v_fma_f64 v[142:143], v[134:135], s[10:11], -v[194:195]
	v_add_f64 v[190:191], v[4:5], v[190:191]
	v_fma_f64 v[136:137], v[132:133], s[0:1], -v[192:193]
	v_add_f64 v[142:143], v[142:143], v[190:191]
	v_add_f64 v[136:137], v[136:137], v[142:143]
	v_fma_f64 v[40:41], v[52:53], s[14:15], -v[40:41]
	v_add_f64 v[60:61], v[60:61], v[136:137]
	v_add_u32_e32 v198, v234, v145
	v_fma_f64 v[38:39], v[50:51], s[4:5], -v[38:39]
	v_add_f64 v[40:41], v[40:41], v[60:61]
	v_lshrrev_b32_e32 v136, 2, v198
	v_add_f64 v[60:61], v[38:39], v[40:41]
	v_and_b32_e32 v38, 63, v198
	v_and_b32_e32 v136, 0x3f0, v136
	v_lshl_add_u32 v38, v38, 4, 0
	v_add_u32_e32 v136, s30, v136
	ds_read_b128 v[38:41], v38 offset:32448
	ds_read_b128 v[190:193], v136 offset:1024
	v_lshrrev_b32_e32 v136, 8, v198
	v_and_b32_e32 v136, 0x3f0, v136
	v_add_u32_e32 v136, s30, v136
	ds_read_b128 v[194:197], v136 offset:2048
	s_waitcnt lgkmcnt(1)
	v_mul_f64 v[136:137], v[40:41], v[192:193]
	v_fma_f64 v[136:137], v[38:39], v[190:191], -v[136:137]
	v_mul_f64 v[38:39], v[38:39], v[192:193]
	v_fmac_f64_e32 v[38:39], v[40:41], v[190:191]
	s_waitcnt lgkmcnt(0)
	v_mul_f64 v[40:41], v[38:39], v[196:197]
	v_fmac_f64_e32 v[220:221], s[8:9], v[126:127]
	v_fma_f64 v[142:143], v[194:195], v[136:137], -v[40:41]
	v_fmac_f64_e32 v[218:219], s[10:11], v[124:125]
	v_add_f64 v[40:41], v[2:3], v[220:221]
	v_fmac_f64_e32 v[216:217], s[0:1], v[120:121]
	v_add_f64 v[40:41], v[218:219], v[40:41]
	v_fmac_f64_e32 v[214:215], s[6:7], v[118:119]
	v_add_f64 v[40:41], v[216:217], v[40:41]
	v_fmac_f64_e32 v[212:213], s[14:15], v[116:117]
	v_add_f64 v[40:41], v[214:215], v[40:41]
	v_fmac_f64_e32 v[210:211], s[4:5], v[112:113]
	v_add_f64 v[40:41], v[212:213], v[40:41]
	v_mul_f64 v[136:137], v[136:137], v[196:197]
	v_add_f64 v[190:191], v[210:211], v[40:41]
	v_fmac_f64_e32 v[136:137], v[194:195], v[38:39]
	v_mul_f64 v[38:39], v[190:191], v[136:137]
	v_fma_f64 v[40:41], v[60:61], v[142:143], -v[38:39]
	v_mul_f64 v[38:39], v[60:61], v[136:137]
	v_fmac_f64_e32 v[38:39], v[190:191], v[142:143]
	v_fma_f64 v[142:143], v[130:131], s[0:1], -v[182:183]
	v_fma_f64 v[182:183], v[148:149], s[6:7], -v[188:189]
	;; [unrolled: 1-line block ×4, first 2 shown]
	v_add_f64 v[182:183], v[4:5], v[182:183]
	v_fma_f64 v[60:61], v[50:51], s[10:11], -v[178:179]
	v_fma_f64 v[178:179], v[132:133], s[8:9], -v[184:185]
	v_add_f64 v[180:181], v[180:181], v[182:183]
	v_add_f64 v[178:179], v[178:179], v[180:181]
	;; [unrolled: 1-line block ×4, first 2 shown]
	v_add_u32_e32 v190, v198, v145
	v_add_f64 v[60:61], v[60:61], v[136:137]
	v_and_b32_e32 v136, 63, v190
	v_lshl_add_u32 v136, v136, 4, 0
	ds_read_b128 v[178:181], v136 offset:32448
	v_lshrrev_b32_e32 v136, 2, v190
	v_and_b32_e32 v136, 0x3f0, v136
	v_add_u32_e32 v136, s30, v136
	ds_read_b128 v[182:185], v136 offset:1024
	v_lshrrev_b32_e32 v136, 8, v190
	v_and_b32_e32 v136, 0x3f0, v136
	v_add_u32_e32 v136, s30, v136
	v_fmac_f64_e32 v[176:177], s[6:7], v[126:127]
	ds_read_b128 v[186:189], v136 offset:2048
	v_fmac_f64_e32 v[174:175], s[14:15], v[124:125]
	v_add_f64 v[176:177], v[2:3], v[176:177]
	v_fmac_f64_e32 v[172:173], s[8:9], v[120:121]
	v_add_f64 v[174:175], v[174:175], v[176:177]
	v_fmac_f64_e32 v[170:171], s[0:1], v[118:119]
	v_add_f64 v[172:173], v[172:173], v[174:175]
	s_waitcnt lgkmcnt(1)
	v_mul_f64 v[136:137], v[180:181], v[184:185]
	v_fmac_f64_e32 v[44:45], s[4:5], v[116:117]
	v_add_f64 v[170:171], v[170:171], v[172:173]
	v_fma_f64 v[136:137], v[178:179], v[182:183], -v[136:137]
	v_mul_f64 v[142:143], v[178:179], v[184:185]
	v_fmac_f64_e32 v[42:43], s[10:11], v[112:113]
	v_add_f64 v[44:45], v[44:45], v[170:171]
	v_fmac_f64_e32 v[142:143], v[180:181], v[182:183]
	v_add_f64 v[170:171], v[42:43], v[44:45]
	s_waitcnt lgkmcnt(0)
	v_mul_f64 v[42:43], v[136:137], v[188:189]
	v_mul_f64 v[178:179], v[142:143], v[188:189]
	v_fmac_f64_e32 v[42:43], v[186:187], v[142:143]
	v_fma_f64 v[178:179], v[186:187], v[136:137], -v[178:179]
	v_mul_f64 v[44:45], v[170:171], v[42:43]
	v_fma_f64 v[44:45], v[60:61], v[178:179], -v[44:45]
	v_mul_f64 v[42:43], v[60:61], v[42:43]
	v_fma_f64 v[60:61], v[130:131], s[10:11], -v[150:151]
	v_fma_f64 v[150:151], v[148:149], s[4:5], -v[156:157]
	;; [unrolled: 1-line block ×3, first 2 shown]
	v_add_f64 v[150:151], v[4:5], v[150:151]
	v_fma_f64 v[136:137], v[132:133], s[14:15], -v[152:153]
	v_add_f64 v[142:143], v[142:143], v[150:151]
	v_add_f64 v[136:137], v[136:137], v[142:143]
	v_fmac_f64_e32 v[42:43], v[170:171], v[178:179]
	v_fma_f64 v[48:49], v[52:53], s[6:7], -v[48:49]
	v_add_f64 v[60:61], v[60:61], v[136:137]
	v_add_u32_e32 v170, v190, v145
	v_fma_f64 v[46:47], v[50:51], s[0:1], -v[46:47]
	v_add_f64 v[48:49], v[48:49], v[60:61]
	v_lshrrev_b32_e32 v136, 2, v170
	v_add_f64 v[60:61], v[46:47], v[48:49]
	v_and_b32_e32 v46, 63, v170
	v_and_b32_e32 v136, 0x3f0, v136
	v_lshl_add_u32 v46, v46, 4, 0
	v_add_u32_e32 v136, s30, v136
	ds_read_b128 v[46:49], v46 offset:32448
	ds_read_b128 v[150:153], v136 offset:1024
	v_lshrrev_b32_e32 v136, 8, v170
	v_and_b32_e32 v136, 0x3f0, v136
	v_add_u32_e32 v136, s30, v136
	ds_read_b128 v[154:157], v136 offset:2048
	s_waitcnt lgkmcnt(1)
	v_mul_f64 v[136:137], v[48:49], v[152:153]
	v_fma_f64 v[136:137], v[46:47], v[150:151], -v[136:137]
	v_mul_f64 v[46:47], v[46:47], v[152:153]
	v_fmac_f64_e32 v[46:47], v[48:49], v[150:151]
	s_waitcnt lgkmcnt(0)
	v_mul_f64 v[48:49], v[46:47], v[156:157]
	v_fmac_f64_e32 v[168:169], s[4:5], v[126:127]
	v_fma_f64 v[142:143], v[154:155], v[136:137], -v[48:49]
	v_fmac_f64_e32 v[166:167], s[8:9], v[124:125]
	v_add_f64 v[48:49], v[2:3], v[168:169]
	v_fmac_f64_e32 v[164:165], s[14:15], v[120:121]
	v_add_f64 v[48:49], v[166:167], v[48:49]
	;; [unrolled: 2-line block ×5, first 2 shown]
	v_mul_f64 v[136:137], v[136:137], v[156:157]
	v_add_f64 v[150:151], v[158:159], v[48:49]
	v_fmac_f64_e32 v[136:137], v[154:155], v[46:47]
	v_mul_f64 v[46:47], v[150:151], v[136:137]
	v_fma_f64 v[48:49], v[60:61], v[142:143], -v[46:47]
	v_mul_f64 v[46:47], v[60:61], v[136:137]
	v_accvgpr_read_b32 v61, a1
	v_accvgpr_read_b32 v60, a0
	v_fma_f64 v[50:51], v[50:51], s[14:15], -v[60:61]
	v_fma_f64 v[60:61], v[130:131], s[8:9], -v[140:141]
	v_accvgpr_read_b32 v131, a3
	v_accvgpr_read_b32 v130, a2
	v_fma_f64 v[130:131], v[132:133], s[6:7], -v[130:131]
	v_accvgpr_read_b32 v133, a5
	v_accvgpr_read_b32 v132, a4
	v_fma_f64 v[132:133], v[134:135], s[4:5], -v[132:133]
	v_fma_f64 v[134:135], v[148:149], s[0:1], -v[146:147]
	v_add_f64 v[134:135], v[4:5], v[134:135]
	v_add_f64 v[132:133], v[132:133], v[134:135]
	;; [unrolled: 1-line block ×3, first 2 shown]
	v_fma_f64 v[52:53], v[52:53], s[10:11], -v[138:139]
	v_add_f64 v[60:61], v[60:61], v[130:131]
	v_add_f64 v[52:53], v[52:53], v[60:61]
	;; [unrolled: 1-line block ×3, first 2 shown]
	v_add_u32_e32 v50, v170, v145
	v_and_b32_e32 v51, 63, v50
	v_lshl_add_u32 v51, v51, 4, 0
	ds_read_b128 v[138:141], v51 offset:32448
	v_lshrrev_b32_e32 v51, 2, v50
	v_and_b32_e32 v51, 0x3f0, v51
	v_add_u32_e32 v51, s30, v51
	v_lshrrev_b32_e32 v50, 8, v50
	ds_read_b128 v[132:135], v51 offset:1024
	v_and_b32_e32 v50, 0x3f0, v50
	v_add_u32_e32 v50, s30, v50
	ds_read_b128 v[50:53], v50 offset:2048
	v_add_f64 v[4:5], v[4:5], v[104:105]
	s_waitcnt lgkmcnt(1)
	v_mul_f64 v[60:61], v[140:141], v[134:135]
	v_mul_f64 v[134:135], v[138:139], v[134:135]
	v_fmac_f64_e32 v[134:135], v[140:141], v[132:133]
	v_fma_f64 v[136:137], v[138:139], v[132:133], -v[60:61]
	s_waitcnt lgkmcnt(0)
	v_mul_f64 v[60:61], v[134:135], v[52:53]
	v_fmac_f64_e32 v[128:129], s[0:1], v[126:127]
	v_add_f64 v[4:5], v[4:5], v[100:101]
	v_fma_f64 v[132:133], v[50:51], v[136:137], -v[60:61]
	v_fmac_f64_e32 v[122:123], s[4:5], v[124:125]
	v_add_f64 v[60:61], v[2:3], v[128:129]
	v_add_f64 v[4:5], v[4:5], v[98:99]
	v_fmac_f64_e32 v[114:115], s[6:7], v[120:121]
	v_add_f64 v[60:61], v[122:123], v[60:61]
	v_add_f64 v[4:5], v[4:5], v[94:95]
	;; [unrolled: 3-line block ×5, first 2 shown]
	v_add_f64 v[60:61], v[106:107], v[60:61]
	v_mul_f64 v[106:107], v[136:137], v[52:53]
	v_add_f64 v[4:5], v[4:5], v[86:87]
	v_fmac_f64_e32 v[106:107], v[50:51], v[134:135]
	v_add_f64 v[4:5], v[4:5], v[90:91]
	v_mul_f64 v[50:51], v[60:61], v[106:107]
	v_add_f64 v[4:5], v[4:5], v[92:93]
	v_fma_f64 v[52:53], v[130:131], v[132:133], -v[50:51]
	v_mul_f64 v[50:51], v[130:131], v[106:107]
	v_add_f64 v[4:5], v[4:5], v[96:97]
	v_fmac_f64_e32 v[50:51], v[60:61], v[132:133]
	v_add_f64 v[60:61], v[4:5], v[102:103]
	v_mul_lo_u32 v4, v1, v144
	v_and_b32_e32 v5, 63, v4
	v_lshl_add_u32 v5, v5, 4, 0
	v_add_f64 v[2:3], v[2:3], v[80:81]
	ds_read_b128 v[82:85], v5 offset:32448
	v_lshrrev_b32_e32 v5, 2, v4
	v_add_f64 v[2:3], v[2:3], v[76:77]
	v_and_b32_e32 v5, 0x3f0, v5
	v_add_f64 v[2:3], v[2:3], v[74:75]
	v_add_u32_e32 v5, s30, v5
	v_lshrrev_b32_e32 v4, 8, v4
	v_add_f64 v[2:3], v[2:3], v[70:71]
	ds_read_b128 v[86:89], v5 offset:1024
	v_and_b32_e32 v4, 0x3f0, v4
	v_add_f64 v[2:3], v[2:3], v[64:65]
	v_add_u32_e32 v4, s30, v4
	ds_read_b128 v[90:93], v4 offset:2048
	v_add_f64 v[2:3], v[2:3], v[54:55]
	v_add_f64 v[2:3], v[2:3], v[56:57]
	;; [unrolled: 1-line block ×4, first 2 shown]
	s_waitcnt lgkmcnt(1)
	v_mul_f64 v[4:5], v[84:85], v[88:89]
	v_add_f64 v[2:3], v[2:3], v[68:69]
	v_fma_f64 v[4:5], v[82:83], v[86:87], -v[4:5]
	v_mul_f64 v[82:83], v[82:83], v[88:89]
	v_add_f64 v[2:3], v[2:3], v[72:73]
	s_mov_b32 s0, 0x1a41a42
	v_fmac_f64_e32 v[82:83], v[84:85], v[86:87]
	v_add_f64 v[54:55], v[2:3], v[78:79]
	s_waitcnt lgkmcnt(0)
	v_mul_f64 v[2:3], v[4:5], v[92:93]
	v_mul_hi_u32 v0, v0, s0
	s_movk_i32 s0, 0xa9
	v_mul_f64 v[84:85], v[82:83], v[92:93]
	v_fmac_f64_e32 v[2:3], v[90:91], v[82:83]
	v_mad_u32_u24 v56, v0, s0, v1
	v_fma_f64 v[84:85], v[90:91], v[4:5], -v[84:85]
	v_mul_f64 v[4:5], v[54:55], v[2:3]
	v_mul_f64 v[2:3], v[60:61], v[2:3]
	v_mad_u64_u32 v[0:1], s[0:1], s12, v56, 0
	v_fmac_f64_e32 v[2:3], v[54:55], v[84:85]
	v_mov_b32_e32 v54, v1
	v_mad_u64_u32 v[54:55], s[0:1], s13, v56, v[54:55]
	s_lshl_b64 s[0:1], s[2:3], 4
	s_add_u32 s0, s16, s0
	s_addc_u32 s1, s17, s1
	v_mov_b32_e32 v1, v54
	v_lshl_add_u64 v[54:55], v[58:59], 4, s[0:1]
	v_fma_f64 v[4:5], v[60:61], v[84:85], -v[4:5]
	v_lshl_add_u64 v[0:1], v[0:1], 4, v[54:55]
	global_store_dwordx4 v[0:1], v[2:5], off
	v_fmac_f64_e32 v[46:47], v[150:151], v[142:143]
	v_add_f64 v[244:245], v[244:245], v[28:29]
	v_add_u32_e32 v3, 13, v56
	v_mad_u64_u32 v[0:1], s[0:1], s12, v3, 0
	v_mov_b32_e32 v2, v1
	v_mad_u64_u32 v[2:3], s[0:1], s13, v3, v[2:3]
	v_mov_b32_e32 v1, v2
	v_lshl_add_u64 v[0:1], v[0:1], 4, v[54:55]
	v_add_u32_e32 v3, 26, v56
	global_store_dwordx4 v[0:1], v[50:53], off
	v_mad_u64_u32 v[0:1], s[0:1], s12, v3, 0
	v_mov_b32_e32 v2, v1
	v_mad_u64_u32 v[2:3], s[0:1], s13, v3, v[2:3]
	v_mov_b32_e32 v1, v2
	v_lshl_add_u64 v[0:1], v[0:1], 4, v[54:55]
	v_add_u32_e32 v3, 39, v56
	global_store_dwordx4 v[0:1], v[46:49], off
	;; [unrolled: 7-line block ×6, first 2 shown]
	v_mad_u64_u32 v[0:1], s[0:1], s12, v3, 0
	v_mov_b32_e32 v2, v1
	v_mul_f64 v[28:29], v[244:245], v[248:249]
	v_mad_u64_u32 v[2:3], s[0:1], s13, v3, v[2:3]
	v_fma_f64 v[28:29], v[26:27], v[252:253], -v[28:29]
	v_mul_f64 v[26:27], v[26:27], v[248:249]
	v_mov_b32_e32 v1, v2
	v_fmac_f64_e32 v[26:27], v[244:245], v[252:253]
	v_lshl_add_u64 v[0:1], v[0:1], 4, v[54:55]
	v_add_u32_e32 v3, 0x68, v56
	global_store_dwordx4 v[0:1], v[26:29], off
	v_mad_u64_u32 v[0:1], s[0:1], s12, v3, 0
	v_mov_b32_e32 v2, v1
	v_mad_u64_u32 v[2:3], s[0:1], s13, v3, v[2:3]
	v_mov_b32_e32 v1, v2
	v_lshl_add_u64 v[0:1], v[0:1], 4, v[54:55]
	v_add_u32_e32 v3, 0x75, v56
	global_store_dwordx4 v[0:1], v[22:25], off
	v_mad_u64_u32 v[0:1], s[0:1], s12, v3, 0
	v_mov_b32_e32 v2, v1
	v_mad_u64_u32 v[2:3], s[0:1], s13, v3, v[2:3]
	v_mov_b32_e32 v1, v2
	;; [unrolled: 7-line block ×5, first 2 shown]
	v_lshl_add_u64 v[0:1], v[0:1], 4, v[54:55]
	global_store_dwordx4 v[0:1], v[6:9], off
.LBB0_43:
	s_endpgm
	.section	.rodata,"a",@progbits
	.p2align	6, 0x0
	.amdhsa_kernel fft_rtc_back_len169_factors_13_13_wgs_156_tpt_13_dp_ip_CI_sbcc_twdbase6_3step_dirReg_intrinsicRead
		.amdhsa_group_segment_fixed_size 0
		.amdhsa_private_segment_fixed_size 0
		.amdhsa_kernarg_size 96
		.amdhsa_user_sgpr_count 2
		.amdhsa_user_sgpr_dispatch_ptr 0
		.amdhsa_user_sgpr_queue_ptr 0
		.amdhsa_user_sgpr_kernarg_segment_ptr 1
		.amdhsa_user_sgpr_dispatch_id 0
		.amdhsa_user_sgpr_kernarg_preload_length 0
		.amdhsa_user_sgpr_kernarg_preload_offset 0
		.amdhsa_user_sgpr_private_segment_size 0
		.amdhsa_uses_dynamic_stack 0
		.amdhsa_enable_private_segment 0
		.amdhsa_system_sgpr_workgroup_id_x 1
		.amdhsa_system_sgpr_workgroup_id_y 0
		.amdhsa_system_sgpr_workgroup_id_z 0
		.amdhsa_system_sgpr_workgroup_info 0
		.amdhsa_system_vgpr_workitem_id 0
		.amdhsa_next_free_vgpr 262
		.amdhsa_next_free_sgpr 50
		.amdhsa_accum_offset 256
		.amdhsa_reserve_vcc 1
		.amdhsa_float_round_mode_32 0
		.amdhsa_float_round_mode_16_64 0
		.amdhsa_float_denorm_mode_32 3
		.amdhsa_float_denorm_mode_16_64 3
		.amdhsa_dx10_clamp 1
		.amdhsa_ieee_mode 1
		.amdhsa_fp16_overflow 0
		.amdhsa_tg_split 0
		.amdhsa_exception_fp_ieee_invalid_op 0
		.amdhsa_exception_fp_denorm_src 0
		.amdhsa_exception_fp_ieee_div_zero 0
		.amdhsa_exception_fp_ieee_overflow 0
		.amdhsa_exception_fp_ieee_underflow 0
		.amdhsa_exception_fp_ieee_inexact 0
		.amdhsa_exception_int_div_zero 0
	.end_amdhsa_kernel
	.text
.Lfunc_end0:
	.size	fft_rtc_back_len169_factors_13_13_wgs_156_tpt_13_dp_ip_CI_sbcc_twdbase6_3step_dirReg_intrinsicRead, .Lfunc_end0-fft_rtc_back_len169_factors_13_13_wgs_156_tpt_13_dp_ip_CI_sbcc_twdbase6_3step_dirReg_intrinsicRead
                                        ; -- End function
	.section	.AMDGPU.csdata,"",@progbits
; Kernel info:
; codeLenInByte = 12736
; NumSgprs: 56
; NumVgprs: 256
; NumAgprs: 6
; TotalNumVgprs: 262
; ScratchSize: 0
; MemoryBound: 0
; FloatMode: 240
; IeeeMode: 1
; LDSByteSize: 0 bytes/workgroup (compile time only)
; SGPRBlocks: 6
; VGPRBlocks: 32
; NumSGPRsForWavesPerEU: 56
; NumVGPRsForWavesPerEU: 262
; AccumOffset: 256
; Occupancy: 1
; WaveLimiterHint : 1
; COMPUTE_PGM_RSRC2:SCRATCH_EN: 0
; COMPUTE_PGM_RSRC2:USER_SGPR: 2
; COMPUTE_PGM_RSRC2:TRAP_HANDLER: 0
; COMPUTE_PGM_RSRC2:TGID_X_EN: 1
; COMPUTE_PGM_RSRC2:TGID_Y_EN: 0
; COMPUTE_PGM_RSRC2:TGID_Z_EN: 0
; COMPUTE_PGM_RSRC2:TIDIG_COMP_CNT: 0
; COMPUTE_PGM_RSRC3_GFX90A:ACCUM_OFFSET: 63
; COMPUTE_PGM_RSRC3_GFX90A:TG_SPLIT: 0
	.text
	.p2alignl 6, 3212836864
	.fill 256, 4, 3212836864
	.type	__hip_cuid_6712c5d18996324,@object ; @__hip_cuid_6712c5d18996324
	.section	.bss,"aw",@nobits
	.globl	__hip_cuid_6712c5d18996324
__hip_cuid_6712c5d18996324:
	.byte	0                               ; 0x0
	.size	__hip_cuid_6712c5d18996324, 1

	.ident	"AMD clang version 19.0.0git (https://github.com/RadeonOpenCompute/llvm-project roc-6.4.0 25133 c7fe45cf4b819c5991fe208aaa96edf142730f1d)"
	.section	".note.GNU-stack","",@progbits
	.addrsig
	.addrsig_sym __hip_cuid_6712c5d18996324
	.amdgpu_metadata
---
amdhsa.kernels:
  - .agpr_count:     6
    .args:
      - .actual_access:  read_only
        .address_space:  global
        .offset:         0
        .size:           8
        .value_kind:     global_buffer
      - .address_space:  global
        .offset:         8
        .size:           8
        .value_kind:     global_buffer
      - .offset:         16
        .size:           8
        .value_kind:     by_value
      - .actual_access:  read_only
        .address_space:  global
        .offset:         24
        .size:           8
        .value_kind:     global_buffer
      - .actual_access:  read_only
        .address_space:  global
        .offset:         32
        .size:           8
        .value_kind:     global_buffer
      - .offset:         40
        .size:           8
        .value_kind:     by_value
      - .actual_access:  read_only
        .address_space:  global
        .offset:         48
        .size:           8
        .value_kind:     global_buffer
      - .actual_access:  read_only
        .address_space:  global
        .offset:         56
        .size:           8
        .value_kind:     global_buffer
      - .offset:         64
        .size:           4
        .value_kind:     by_value
      - .actual_access:  read_only
        .address_space:  global
        .offset:         72
        .size:           8
        .value_kind:     global_buffer
      - .actual_access:  read_only
        .address_space:  global
        .offset:         80
        .size:           8
        .value_kind:     global_buffer
      - .address_space:  global
        .offset:         88
        .size:           8
        .value_kind:     global_buffer
    .group_segment_fixed_size: 0
    .kernarg_segment_align: 8
    .kernarg_segment_size: 96
    .language:       OpenCL C
    .language_version:
      - 2
      - 0
    .max_flat_workgroup_size: 156
    .name:           fft_rtc_back_len169_factors_13_13_wgs_156_tpt_13_dp_ip_CI_sbcc_twdbase6_3step_dirReg_intrinsicRead
    .private_segment_fixed_size: 0
    .sgpr_count:     56
    .sgpr_spill_count: 0
    .symbol:         fft_rtc_back_len169_factors_13_13_wgs_156_tpt_13_dp_ip_CI_sbcc_twdbase6_3step_dirReg_intrinsicRead.kd
    .uniform_work_group_size: 1
    .uses_dynamic_stack: false
    .vgpr_count:     262
    .vgpr_spill_count: 0
    .wavefront_size: 64
amdhsa.target:   amdgcn-amd-amdhsa--gfx950
amdhsa.version:
  - 1
  - 2
...

	.end_amdgpu_metadata
